;; amdgpu-corpus repo=ROCm/rocFFT kind=compiled arch=gfx1201 opt=O3
	.text
	.amdgcn_target "amdgcn-amd-amdhsa--gfx1201"
	.amdhsa_code_object_version 6
	.protected	fft_rtc_back_len918_factors_17_9_2_3_wgs_102_tpt_102_halfLds_dp_ip_CI_unitstride_sbrr_C2R_dirReg ; -- Begin function fft_rtc_back_len918_factors_17_9_2_3_wgs_102_tpt_102_halfLds_dp_ip_CI_unitstride_sbrr_C2R_dirReg
	.globl	fft_rtc_back_len918_factors_17_9_2_3_wgs_102_tpt_102_halfLds_dp_ip_CI_unitstride_sbrr_C2R_dirReg
	.p2align	8
	.type	fft_rtc_back_len918_factors_17_9_2_3_wgs_102_tpt_102_halfLds_dp_ip_CI_unitstride_sbrr_C2R_dirReg,@function
fft_rtc_back_len918_factors_17_9_2_3_wgs_102_tpt_102_halfLds_dp_ip_CI_unitstride_sbrr_C2R_dirReg: ; @fft_rtc_back_len918_factors_17_9_2_3_wgs_102_tpt_102_halfLds_dp_ip_CI_unitstride_sbrr_C2R_dirReg
; %bb.0:
	s_clause 0x2
	s_load_b128 s[4:7], s[0:1], 0x0
	s_load_b64 s[8:9], s[0:1], 0x50
	s_load_b64 s[10:11], s[0:1], 0x18
	v_mul_u32_u24_e32 v1, 0x283, v0
	v_mov_b32_e32 v3, 0
	s_delay_alu instid0(VALU_DEP_2) | instskip(NEXT) | instid1(VALU_DEP_1)
	v_lshrrev_b32_e32 v1, 16, v1
	v_add_nc_u32_e32 v5, ttmp9, v1
	v_mov_b32_e32 v1, 0
	v_mov_b32_e32 v2, 0
	;; [unrolled: 1-line block ×3, first 2 shown]
	s_wait_kmcnt 0x0
	v_cmp_lt_u64_e64 s2, s[6:7], 2
	s_delay_alu instid0(VALU_DEP_1)
	s_and_b32 vcc_lo, exec_lo, s2
	s_cbranch_vccnz .LBB0_8
; %bb.1:
	s_load_b64 s[2:3], s[0:1], 0x10
	v_mov_b32_e32 v1, 0
	v_mov_b32_e32 v2, 0
	s_add_nc_u64 s[12:13], s[10:11], 8
	s_mov_b64 s[14:15], 1
	s_wait_kmcnt 0x0
	s_add_nc_u64 s[16:17], s[2:3], 8
	s_mov_b32 s3, 0
.LBB0_2:                                ; =>This Inner Loop Header: Depth=1
	s_load_b64 s[18:19], s[16:17], 0x0
                                        ; implicit-def: $vgpr7_vgpr8
	s_mov_b32 s2, exec_lo
	s_wait_kmcnt 0x0
	v_or_b32_e32 v4, s19, v6
	s_delay_alu instid0(VALU_DEP_1)
	v_cmpx_ne_u64_e32 0, v[3:4]
	s_wait_alu 0xfffe
	s_xor_b32 s20, exec_lo, s2
	s_cbranch_execz .LBB0_4
; %bb.3:                                ;   in Loop: Header=BB0_2 Depth=1
	s_cvt_f32_u32 s2, s18
	s_cvt_f32_u32 s21, s19
	s_sub_nc_u64 s[24:25], 0, s[18:19]
	s_wait_alu 0xfffe
	s_delay_alu instid0(SALU_CYCLE_1) | instskip(SKIP_1) | instid1(SALU_CYCLE_2)
	s_fmamk_f32 s2, s21, 0x4f800000, s2
	s_wait_alu 0xfffe
	v_s_rcp_f32 s2, s2
	s_delay_alu instid0(TRANS32_DEP_1) | instskip(SKIP_1) | instid1(SALU_CYCLE_2)
	s_mul_f32 s2, s2, 0x5f7ffffc
	s_wait_alu 0xfffe
	s_mul_f32 s21, s2, 0x2f800000
	s_wait_alu 0xfffe
	s_delay_alu instid0(SALU_CYCLE_2) | instskip(SKIP_1) | instid1(SALU_CYCLE_2)
	s_trunc_f32 s21, s21
	s_wait_alu 0xfffe
	s_fmamk_f32 s2, s21, 0xcf800000, s2
	s_cvt_u32_f32 s23, s21
	s_wait_alu 0xfffe
	s_delay_alu instid0(SALU_CYCLE_1) | instskip(SKIP_1) | instid1(SALU_CYCLE_2)
	s_cvt_u32_f32 s22, s2
	s_wait_alu 0xfffe
	s_mul_u64 s[26:27], s[24:25], s[22:23]
	s_wait_alu 0xfffe
	s_mul_hi_u32 s29, s22, s27
	s_mul_i32 s28, s22, s27
	s_mul_hi_u32 s2, s22, s26
	s_mul_i32 s30, s23, s26
	s_wait_alu 0xfffe
	s_add_nc_u64 s[28:29], s[2:3], s[28:29]
	s_mul_hi_u32 s21, s23, s26
	s_mul_hi_u32 s31, s23, s27
	s_add_co_u32 s2, s28, s30
	s_wait_alu 0xfffe
	s_add_co_ci_u32 s2, s29, s21
	s_mul_i32 s26, s23, s27
	s_add_co_ci_u32 s27, s31, 0
	s_wait_alu 0xfffe
	s_add_nc_u64 s[26:27], s[2:3], s[26:27]
	s_wait_alu 0xfffe
	v_add_co_u32 v4, s2, s22, s26
	s_delay_alu instid0(VALU_DEP_1) | instskip(SKIP_1) | instid1(VALU_DEP_1)
	s_cmp_lg_u32 s2, 0
	s_add_co_ci_u32 s23, s23, s27
	v_readfirstlane_b32 s22, v4
	s_wait_alu 0xfffe
	s_delay_alu instid0(VALU_DEP_1)
	s_mul_u64 s[24:25], s[24:25], s[22:23]
	s_wait_alu 0xfffe
	s_mul_hi_u32 s27, s22, s25
	s_mul_i32 s26, s22, s25
	s_mul_hi_u32 s2, s22, s24
	s_mul_i32 s28, s23, s24
	s_wait_alu 0xfffe
	s_add_nc_u64 s[26:27], s[2:3], s[26:27]
	s_mul_hi_u32 s21, s23, s24
	s_mul_hi_u32 s22, s23, s25
	s_wait_alu 0xfffe
	s_add_co_u32 s2, s26, s28
	s_add_co_ci_u32 s2, s27, s21
	s_mul_i32 s24, s23, s25
	s_add_co_ci_u32 s25, s22, 0
	s_wait_alu 0xfffe
	s_add_nc_u64 s[24:25], s[2:3], s[24:25]
	s_wait_alu 0xfffe
	v_add_co_u32 v4, s2, v4, s24
	s_delay_alu instid0(VALU_DEP_1) | instskip(SKIP_1) | instid1(VALU_DEP_1)
	s_cmp_lg_u32 s2, 0
	s_add_co_ci_u32 s2, s23, s25
	v_mul_hi_u32 v13, v5, v4
	s_wait_alu 0xfffe
	v_mad_co_u64_u32 v[7:8], null, v5, s2, 0
	v_mad_co_u64_u32 v[9:10], null, v6, v4, 0
	;; [unrolled: 1-line block ×3, first 2 shown]
	s_delay_alu instid0(VALU_DEP_3) | instskip(SKIP_1) | instid1(VALU_DEP_4)
	v_add_co_u32 v4, vcc_lo, v13, v7
	s_wait_alu 0xfffd
	v_add_co_ci_u32_e32 v7, vcc_lo, 0, v8, vcc_lo
	s_delay_alu instid0(VALU_DEP_2) | instskip(SKIP_1) | instid1(VALU_DEP_2)
	v_add_co_u32 v4, vcc_lo, v4, v9
	s_wait_alu 0xfffd
	v_add_co_ci_u32_e32 v4, vcc_lo, v7, v10, vcc_lo
	s_wait_alu 0xfffd
	v_add_co_ci_u32_e32 v7, vcc_lo, 0, v12, vcc_lo
	s_delay_alu instid0(VALU_DEP_2) | instskip(SKIP_1) | instid1(VALU_DEP_2)
	v_add_co_u32 v4, vcc_lo, v4, v11
	s_wait_alu 0xfffd
	v_add_co_ci_u32_e32 v9, vcc_lo, 0, v7, vcc_lo
	s_delay_alu instid0(VALU_DEP_2) | instskip(SKIP_1) | instid1(VALU_DEP_3)
	v_mul_lo_u32 v10, s19, v4
	v_mad_co_u64_u32 v[7:8], null, s18, v4, 0
	v_mul_lo_u32 v11, s18, v9
	s_delay_alu instid0(VALU_DEP_2) | instskip(NEXT) | instid1(VALU_DEP_2)
	v_sub_co_u32 v7, vcc_lo, v5, v7
	v_add3_u32 v8, v8, v11, v10
	s_delay_alu instid0(VALU_DEP_1) | instskip(SKIP_1) | instid1(VALU_DEP_1)
	v_sub_nc_u32_e32 v10, v6, v8
	s_wait_alu 0xfffd
	v_subrev_co_ci_u32_e64 v10, s2, s19, v10, vcc_lo
	v_add_co_u32 v11, s2, v4, 2
	s_wait_alu 0xf1ff
	v_add_co_ci_u32_e64 v12, s2, 0, v9, s2
	v_sub_co_u32 v13, s2, v7, s18
	v_sub_co_ci_u32_e32 v8, vcc_lo, v6, v8, vcc_lo
	s_wait_alu 0xf1ff
	v_subrev_co_ci_u32_e64 v10, s2, 0, v10, s2
	s_delay_alu instid0(VALU_DEP_3) | instskip(NEXT) | instid1(VALU_DEP_3)
	v_cmp_le_u32_e32 vcc_lo, s18, v13
	v_cmp_eq_u32_e64 s2, s19, v8
	s_wait_alu 0xfffd
	v_cndmask_b32_e64 v13, 0, -1, vcc_lo
	v_cmp_le_u32_e32 vcc_lo, s19, v10
	s_wait_alu 0xfffd
	v_cndmask_b32_e64 v14, 0, -1, vcc_lo
	v_cmp_le_u32_e32 vcc_lo, s18, v7
	;; [unrolled: 3-line block ×3, first 2 shown]
	s_wait_alu 0xfffd
	v_cndmask_b32_e64 v15, 0, -1, vcc_lo
	v_cmp_eq_u32_e32 vcc_lo, s19, v10
	s_wait_alu 0xf1ff
	s_delay_alu instid0(VALU_DEP_2)
	v_cndmask_b32_e64 v7, v15, v7, s2
	s_wait_alu 0xfffd
	v_cndmask_b32_e32 v10, v14, v13, vcc_lo
	v_add_co_u32 v13, vcc_lo, v4, 1
	s_wait_alu 0xfffd
	v_add_co_ci_u32_e32 v14, vcc_lo, 0, v9, vcc_lo
	s_delay_alu instid0(VALU_DEP_3) | instskip(SKIP_2) | instid1(VALU_DEP_3)
	v_cmp_ne_u32_e32 vcc_lo, 0, v10
	s_wait_alu 0xfffd
	v_cndmask_b32_e32 v10, v13, v11, vcc_lo
	v_cndmask_b32_e32 v8, v14, v12, vcc_lo
	v_cmp_ne_u32_e32 vcc_lo, 0, v7
	s_wait_alu 0xfffd
	s_delay_alu instid0(VALU_DEP_2)
	v_dual_cndmask_b32 v7, v4, v10 :: v_dual_cndmask_b32 v8, v9, v8
.LBB0_4:                                ;   in Loop: Header=BB0_2 Depth=1
	s_wait_alu 0xfffe
	s_and_not1_saveexec_b32 s2, s20
	s_cbranch_execz .LBB0_6
; %bb.5:                                ;   in Loop: Header=BB0_2 Depth=1
	v_cvt_f32_u32_e32 v4, s18
	s_sub_co_i32 s20, 0, s18
	s_delay_alu instid0(VALU_DEP_1) | instskip(NEXT) | instid1(TRANS32_DEP_1)
	v_rcp_iflag_f32_e32 v4, v4
	v_mul_f32_e32 v4, 0x4f7ffffe, v4
	s_delay_alu instid0(VALU_DEP_1) | instskip(SKIP_1) | instid1(VALU_DEP_1)
	v_cvt_u32_f32_e32 v4, v4
	s_wait_alu 0xfffe
	v_mul_lo_u32 v7, s20, v4
	s_delay_alu instid0(VALU_DEP_1) | instskip(NEXT) | instid1(VALU_DEP_1)
	v_mul_hi_u32 v7, v4, v7
	v_add_nc_u32_e32 v4, v4, v7
	s_delay_alu instid0(VALU_DEP_1) | instskip(NEXT) | instid1(VALU_DEP_1)
	v_mul_hi_u32 v4, v5, v4
	v_mul_lo_u32 v7, v4, s18
	v_add_nc_u32_e32 v8, 1, v4
	s_delay_alu instid0(VALU_DEP_2) | instskip(NEXT) | instid1(VALU_DEP_1)
	v_sub_nc_u32_e32 v7, v5, v7
	v_subrev_nc_u32_e32 v9, s18, v7
	v_cmp_le_u32_e32 vcc_lo, s18, v7
	s_wait_alu 0xfffd
	s_delay_alu instid0(VALU_DEP_2) | instskip(NEXT) | instid1(VALU_DEP_1)
	v_dual_cndmask_b32 v7, v7, v9 :: v_dual_cndmask_b32 v4, v4, v8
	v_cmp_le_u32_e32 vcc_lo, s18, v7
	s_delay_alu instid0(VALU_DEP_2) | instskip(SKIP_1) | instid1(VALU_DEP_1)
	v_add_nc_u32_e32 v8, 1, v4
	s_wait_alu 0xfffd
	v_dual_cndmask_b32 v7, v4, v8 :: v_dual_mov_b32 v8, v3
.LBB0_6:                                ;   in Loop: Header=BB0_2 Depth=1
	s_wait_alu 0xfffe
	s_or_b32 exec_lo, exec_lo, s2
	s_load_b64 s[20:21], s[12:13], 0x0
	s_delay_alu instid0(VALU_DEP_1)
	v_mul_lo_u32 v4, v8, s18
	v_mul_lo_u32 v11, v7, s19
	v_mad_co_u64_u32 v[9:10], null, v7, s18, 0
	s_add_nc_u64 s[14:15], s[14:15], 1
	s_add_nc_u64 s[12:13], s[12:13], 8
	s_wait_alu 0xfffe
	v_cmp_ge_u64_e64 s2, s[14:15], s[6:7]
	s_add_nc_u64 s[16:17], s[16:17], 8
	s_delay_alu instid0(VALU_DEP_2) | instskip(NEXT) | instid1(VALU_DEP_3)
	v_add3_u32 v4, v10, v11, v4
	v_sub_co_u32 v5, vcc_lo, v5, v9
	s_wait_alu 0xfffd
	s_delay_alu instid0(VALU_DEP_2) | instskip(SKIP_3) | instid1(VALU_DEP_2)
	v_sub_co_ci_u32_e32 v4, vcc_lo, v6, v4, vcc_lo
	s_and_b32 vcc_lo, exec_lo, s2
	s_wait_kmcnt 0x0
	v_mul_lo_u32 v6, s21, v5
	v_mul_lo_u32 v4, s20, v4
	v_mad_co_u64_u32 v[1:2], null, s20, v5, v[1:2]
	s_delay_alu instid0(VALU_DEP_1)
	v_add3_u32 v2, v6, v2, v4
	s_wait_alu 0xfffe
	s_cbranch_vccnz .LBB0_9
; %bb.7:                                ;   in Loop: Header=BB0_2 Depth=1
	v_dual_mov_b32 v5, v7 :: v_dual_mov_b32 v6, v8
	s_branch .LBB0_2
.LBB0_8:
	v_dual_mov_b32 v8, v6 :: v_dual_mov_b32 v7, v5
.LBB0_9:
	s_lshl_b64 s[2:3], s[6:7], 3
	v_mul_hi_u32 v3, 0x2828283, v0
	s_wait_alu 0xfffe
	s_add_nc_u64 s[2:3], s[10:11], s[2:3]
	s_load_b64 s[2:3], s[2:3], 0x0
	s_load_b64 s[0:1], s[0:1], 0x20
	s_delay_alu instid0(VALU_DEP_1)
	v_mul_u32_u24_e32 v3, 0x66, v3
	s_wait_kmcnt 0x0
	v_mul_lo_u32 v4, s2, v8
	v_mul_lo_u32 v5, s3, v7
	v_mad_co_u64_u32 v[1:2], null, s2, v7, v[1:2]
	v_cmp_gt_u64_e32 vcc_lo, s[0:1], v[7:8]
	s_delay_alu instid0(VALU_DEP_2) | instskip(SKIP_2) | instid1(VALU_DEP_3)
	v_add3_u32 v2, v5, v2, v4
	v_sub_nc_u32_e32 v4, v0, v3
	v_mov_b32_e32 v5, 0
	v_lshlrev_b64_e32 v[185:186], 4, v[1:2]
	s_delay_alu instid0(VALU_DEP_3)
	v_mov_b32_e32 v72, v4
	s_and_saveexec_b32 s1, vcc_lo
	s_cbranch_execz .LBB0_13
; %bb.10:
	v_lshlrev_b64_e32 v[2:3], 4, v[4:5]
	s_delay_alu instid0(VALU_DEP_3) | instskip(SKIP_3) | instid1(VALU_DEP_3)
	v_add_co_u32 v0, s0, s8, v185
	s_wait_alu 0xf1ff
	v_add_co_ci_u32_e64 v1, s0, s9, v186, s0
	v_lshl_add_u32 v42, v4, 4, 0
	v_add_co_u32 v2, s0, v0, v2
	s_wait_alu 0xf1ff
	s_delay_alu instid0(VALU_DEP_3)
	v_add_co_ci_u32_e64 v3, s0, v1, v3, s0
	s_mov_b32 s2, exec_lo
	s_clause 0x8
	global_load_b128 v[6:9], v[2:3], off
	global_load_b128 v[10:13], v[2:3], off offset:1632
	global_load_b128 v[14:17], v[2:3], off offset:3264
	;; [unrolled: 1-line block ×8, first 2 shown]
	v_dual_mov_b32 v2, v4 :: v_dual_mov_b32 v3, v5
	s_wait_loadcnt 0x8
	ds_store_b128 v42, v[6:9]
	s_wait_loadcnt 0x7
	ds_store_b128 v42, v[10:13] offset:1632
	s_wait_loadcnt 0x6
	ds_store_b128 v42, v[14:17] offset:3264
	;; [unrolled: 2-line block ×8, first 2 shown]
	v_cmpx_eq_u32_e32 0x65, v4
	s_cbranch_execz .LBB0_12
; %bb.11:
	global_load_b128 v[5:8], v[0:1], off offset:14688
	v_mov_b32_e32 v2, 0x65
	v_dual_mov_b32 v0, 0 :: v_dual_mov_b32 v3, 0
	v_mov_b32_e32 v4, 0x65
	s_wait_loadcnt 0x0
	ds_store_b128 v0, v[5:8] offset:14688
.LBB0_12:
	s_wait_alu 0xfffe
	s_or_b32 exec_lo, exec_lo, s2
	v_dual_mov_b32 v72, v4 :: v_dual_mov_b32 v5, v3
	v_mov_b32_e32 v4, v2
.LBB0_13:
	s_wait_alu 0xfffe
	s_or_b32 exec_lo, exec_lo, s1
	s_delay_alu instid0(VALU_DEP_1)
	v_lshlrev_b32_e32 v0, 4, v72
	global_wb scope:SCOPE_SE
	s_wait_dscnt 0x0
	s_barrier_signal -1
	s_barrier_wait -1
	global_inv scope:SCOPE_SE
	v_add_nc_u32_e32 v176, 0, v0
	v_sub_nc_u32_e32 v10, 0, v0
	v_lshlrev_b64_e32 v[187:188], 4, v[4:5]
	s_mov_b32 s1, exec_lo
	ds_load_b64 v[6:7], v176
	ds_load_b64 v[8:9], v10 offset:14688
	s_wait_dscnt 0x0
	v_add_f64_e32 v[0:1], v[6:7], v[8:9]
	v_add_f64_e64 v[2:3], v[6:7], -v[8:9]
	v_cmpx_ne_u32_e32 0, v72
	s_wait_alu 0xfffe
	s_xor_b32 s1, exec_lo, s1
	s_cbranch_execz .LBB0_15
; %bb.14:
	v_add_co_u32 v0, s0, s4, v187
	s_wait_alu 0xf1ff
	v_add_co_ci_u32_e64 v1, s0, s5, v188, s0
	v_add_f64_e32 v[13:14], v[6:7], v[8:9]
	v_add_f64_e64 v[8:9], v[6:7], -v[8:9]
	global_load_b128 v[2:5], v[0:1], off offset:14416
	ds_load_b64 v[0:1], v10 offset:14696
	ds_load_b64 v[11:12], v176 offset:8
	s_wait_dscnt 0x0
	v_add_f64_e32 v[6:7], v[0:1], v[11:12]
	v_add_f64_e64 v[0:1], v[11:12], -v[0:1]
	s_wait_loadcnt 0x0
	v_fma_f64 v[11:12], v[8:9], v[4:5], v[13:14]
	v_fma_f64 v[13:14], -v[8:9], v[4:5], v[13:14]
	s_delay_alu instid0(VALU_DEP_3) | instskip(SKIP_1) | instid1(VALU_DEP_4)
	v_fma_f64 v[15:16], v[6:7], v[4:5], -v[0:1]
	v_fma_f64 v[17:18], v[6:7], v[4:5], v[0:1]
	v_fma_f64 v[0:1], -v[6:7], v[2:3], v[11:12]
	s_delay_alu instid0(VALU_DEP_4) | instskip(NEXT) | instid1(VALU_DEP_4)
	v_fma_f64 v[4:5], v[6:7], v[2:3], v[13:14]
	v_fma_f64 v[6:7], v[8:9], v[2:3], v[15:16]
	s_delay_alu instid0(VALU_DEP_4)
	v_fma_f64 v[2:3], v[8:9], v[2:3], v[17:18]
	ds_store_b128 v10, v[4:7] offset:14688
.LBB0_15:
	s_wait_alu 0xfffe
	s_and_not1_saveexec_b32 s0, s1
	s_cbranch_execz .LBB0_17
; %bb.16:
	v_mov_b32_e32 v8, 0
	ds_load_b128 v[4:7], v8 offset:7344
	s_wait_dscnt 0x0
	v_add_f64_e32 v[4:5], v[4:5], v[4:5]
	v_mul_f64_e32 v[6:7], -2.0, v[6:7]
	ds_store_b128 v8, v[4:7] offset:7344
.LBB0_17:
	s_wait_alu 0xfffe
	s_or_b32 exec_lo, exec_lo, s0
	v_mov_b32_e32 v73, 0
	s_add_nc_u64 s[0:1], s[4:5], 0x3850
	s_delay_alu instid0(VALU_DEP_1) | instskip(SKIP_1) | instid1(VALU_DEP_1)
	v_lshlrev_b64_e32 v[189:190], 4, v[72:73]
	s_wait_alu 0xfffe
	v_add_co_u32 v4, s0, s0, v189
	s_wait_alu 0xf1ff
	s_delay_alu instid0(VALU_DEP_2)
	v_add_co_ci_u32_e64 v5, s0, s1, v190, s0
	v_cmp_gt_u32_e64 s0, 51, v72
	s_clause 0x1
	global_load_b128 v[6:9], v[4:5], off offset:1632
	global_load_b128 v[11:14], v[4:5], off offset:3264
	ds_store_b128 v176, v[0:3]
	ds_load_b128 v[0:3], v176 offset:1632
	ds_load_b128 v[15:18], v10 offset:13056
	global_load_b128 v[19:22], v[4:5], off offset:4896
	s_wait_dscnt 0x0
	v_add_f64_e32 v[23:24], v[0:1], v[15:16]
	v_add_f64_e32 v[25:26], v[17:18], v[2:3]
	v_add_f64_e64 v[27:28], v[0:1], -v[15:16]
	v_add_f64_e64 v[0:1], v[2:3], -v[17:18]
	s_wait_loadcnt 0x2
	s_delay_alu instid0(VALU_DEP_2) | instskip(NEXT) | instid1(VALU_DEP_2)
	v_fma_f64 v[2:3], v[27:28], v[8:9], v[23:24]
	v_fma_f64 v[15:16], v[25:26], v[8:9], v[0:1]
	v_fma_f64 v[17:18], -v[27:28], v[8:9], v[23:24]
	v_fma_f64 v[8:9], v[25:26], v[8:9], -v[0:1]
	s_delay_alu instid0(VALU_DEP_4) | instskip(NEXT) | instid1(VALU_DEP_4)
	v_fma_f64 v[0:1], -v[25:26], v[6:7], v[2:3]
	v_fma_f64 v[2:3], v[27:28], v[6:7], v[15:16]
	s_delay_alu instid0(VALU_DEP_4) | instskip(NEXT) | instid1(VALU_DEP_4)
	v_fma_f64 v[15:16], v[25:26], v[6:7], v[17:18]
	v_fma_f64 v[17:18], v[27:28], v[6:7], v[8:9]
	ds_store_b128 v176, v[0:3] offset:1632
	ds_store_b128 v10, v[15:18] offset:13056
	ds_load_b128 v[0:3], v176 offset:3264
	ds_load_b128 v[6:9], v10 offset:11424
	s_wait_dscnt 0x0
	v_add_f64_e32 v[15:16], v[0:1], v[6:7]
	v_add_f64_e32 v[17:18], v[8:9], v[2:3]
	v_add_f64_e64 v[23:24], v[0:1], -v[6:7]
	v_add_f64_e64 v[0:1], v[2:3], -v[8:9]
	s_wait_loadcnt 0x1
	s_delay_alu instid0(VALU_DEP_2) | instskip(NEXT) | instid1(VALU_DEP_2)
	v_fma_f64 v[2:3], v[23:24], v[13:14], v[15:16]
	v_fma_f64 v[6:7], v[17:18], v[13:14], v[0:1]
	v_fma_f64 v[8:9], -v[23:24], v[13:14], v[15:16]
	v_fma_f64 v[13:14], v[17:18], v[13:14], -v[0:1]
	s_delay_alu instid0(VALU_DEP_4) | instskip(NEXT) | instid1(VALU_DEP_4)
	v_fma_f64 v[0:1], -v[17:18], v[11:12], v[2:3]
	v_fma_f64 v[2:3], v[23:24], v[11:12], v[6:7]
	s_delay_alu instid0(VALU_DEP_4) | instskip(NEXT) | instid1(VALU_DEP_4)
	v_fma_f64 v[6:7], v[17:18], v[11:12], v[8:9]
	v_fma_f64 v[8:9], v[23:24], v[11:12], v[13:14]
	ds_store_b128 v176, v[0:3] offset:3264
	ds_store_b128 v10, v[6:9] offset:11424
	ds_load_b128 v[0:3], v176 offset:4896
	ds_load_b128 v[6:9], v10 offset:9792
	s_wait_dscnt 0x0
	v_add_f64_e32 v[11:12], v[0:1], v[6:7]
	v_add_f64_e32 v[13:14], v[8:9], v[2:3]
	v_add_f64_e64 v[15:16], v[0:1], -v[6:7]
	v_add_f64_e64 v[0:1], v[2:3], -v[8:9]
	s_wait_loadcnt 0x0
	s_delay_alu instid0(VALU_DEP_2) | instskip(NEXT) | instid1(VALU_DEP_2)
	v_fma_f64 v[2:3], v[15:16], v[21:22], v[11:12]
	v_fma_f64 v[6:7], v[13:14], v[21:22], v[0:1]
	v_fma_f64 v[8:9], -v[15:16], v[21:22], v[11:12]
	v_fma_f64 v[11:12], v[13:14], v[21:22], -v[0:1]
	s_delay_alu instid0(VALU_DEP_4) | instskip(NEXT) | instid1(VALU_DEP_4)
	v_fma_f64 v[0:1], -v[13:14], v[19:20], v[2:3]
	v_fma_f64 v[2:3], v[15:16], v[19:20], v[6:7]
	s_delay_alu instid0(VALU_DEP_4) | instskip(NEXT) | instid1(VALU_DEP_4)
	v_fma_f64 v[6:7], v[13:14], v[19:20], v[8:9]
	v_fma_f64 v[8:9], v[15:16], v[19:20], v[11:12]
	ds_store_b128 v176, v[0:3] offset:4896
	ds_store_b128 v10, v[6:9] offset:9792
	s_and_saveexec_b32 s1, s0
	s_cbranch_execz .LBB0_19
; %bb.18:
	global_load_b128 v[0:3], v[4:5], off offset:6528
	ds_load_b128 v[4:7], v176 offset:6528
	ds_load_b128 v[11:14], v10 offset:8160
	s_wait_dscnt 0x0
	v_add_f64_e32 v[8:9], v[4:5], v[11:12]
	v_add_f64_e32 v[15:16], v[13:14], v[6:7]
	v_add_f64_e64 v[11:12], v[4:5], -v[11:12]
	v_add_f64_e64 v[4:5], v[6:7], -v[13:14]
	s_wait_loadcnt 0x0
	s_delay_alu instid0(VALU_DEP_2) | instskip(NEXT) | instid1(VALU_DEP_2)
	v_fma_f64 v[6:7], v[11:12], v[2:3], v[8:9]
	v_fma_f64 v[13:14], v[15:16], v[2:3], v[4:5]
	v_fma_f64 v[8:9], -v[11:12], v[2:3], v[8:9]
	v_fma_f64 v[17:18], v[15:16], v[2:3], -v[4:5]
	s_delay_alu instid0(VALU_DEP_4) | instskip(NEXT) | instid1(VALU_DEP_4)
	v_fma_f64 v[2:3], -v[15:16], v[0:1], v[6:7]
	v_fma_f64 v[4:5], v[11:12], v[0:1], v[13:14]
	s_delay_alu instid0(VALU_DEP_4) | instskip(NEXT) | instid1(VALU_DEP_4)
	v_fma_f64 v[6:7], v[15:16], v[0:1], v[8:9]
	v_fma_f64 v[8:9], v[11:12], v[0:1], v[17:18]
	ds_store_b128 v176, v[2:5] offset:6528
	ds_store_b128 v10, v[6:9] offset:8160
.LBB0_19:
	s_wait_alu 0xfffe
	s_or_b32 exec_lo, exec_lo, s1
	global_wb scope:SCOPE_SE
	s_wait_dscnt 0x0
	s_barrier_signal -1
	s_barrier_wait -1
	global_inv scope:SCOPE_SE
	global_wb scope:SCOPE_SE
	s_barrier_signal -1
	s_barrier_wait -1
	global_inv scope:SCOPE_SE
	ds_load_b128 v[4:7], v176 offset:13824
	ds_load_b128 v[44:47], v176 offset:864
	ds_load_b128 v[24:27], v176
	ds_load_b128 v[8:11], v176 offset:12960
	ds_load_b128 v[52:55], v176 offset:1728
	;; [unrolled: 1-line block ×3, first 2 shown]
	s_mov_b32 s12, 0xacd6c6b4
	s_mov_b32 s2, 0x7faef3
	;; [unrolled: 1-line block ×4, first 2 shown]
	ds_load_b128 v[12:15], v176 offset:12096
	s_mov_b32 s14, 0x5d8e7cdc
	s_mov_b32 s6, 0x370991
	;; [unrolled: 1-line block ×4, first 2 shown]
	ds_load_b128 v[16:19], v176 offset:11232
	ds_load_b128 v[56:59], v176 offset:3456
	s_mov_b32 s16, 0x4363dd80
	s_mov_b32 s10, 0x910ea3b9
	;; [unrolled: 1-line block ×4, first 2 shown]
	ds_load_b128 v[60:63], v176 offset:4320
	ds_load_b128 v[20:23], v176 offset:10368
	s_mov_b32 s22, 0x2a9d6da3
	s_wait_dscnt 0x9
	v_add_f64_e64 v[142:143], v[46:47], -v[6:7]
	v_add_f64_e32 v[132:133], v[46:47], v[6:7]
	v_add_f64_e32 v[134:135], v[44:45], v[4:5]
	s_wait_dscnt 0x6
	v_add_f64_e64 v[146:147], v[54:55], -v[10:11]
	v_add_f64_e64 v[148:149], v[44:45], -v[4:5]
	v_add_f64_e32 v[130:131], v[54:55], v[10:11]
	v_add_f64_e32 v[128:129], v[52:53], v[8:9]
	s_wait_dscnt 0x4
	v_add_f64_e64 v[114:115], v[50:51], -v[14:15]
	v_add_f64_e64 v[150:151], v[52:53], -v[8:9]
	v_add_f64_e32 v[80:81], v[50:51], v[14:15]
	v_add_f64_e32 v[108:109], v[48:49], v[12:13]
	v_add_f64_e64 v[126:127], v[48:49], -v[12:13]
	s_wait_dscnt 0x2
	v_add_f64_e64 v[122:123], v[58:59], -v[18:19]
	v_add_f64_e32 v[92:93], v[58:59], v[18:19]
	s_mov_b32 s18, 0x75d4884
	s_mov_b32 s23, 0x3fe58eea
	;; [unrolled: 1-line block ×3, first 2 shown]
	v_add_f64_e32 v[98:99], v[56:57], v[16:17]
	v_add_f64_e64 v[124:125], v[56:57], -v[16:17]
	s_wait_dscnt 0x0
	v_add_f64_e64 v[100:101], v[62:63], -v[22:23]
	v_add_f64_e32 v[86:87], v[62:63], v[22:23]
	s_mov_b32 s20, 0x6ed5f1bb
	s_mov_b32 s26, 0x6c9a05f6
	;; [unrolled: 1-line block ×4, first 2 shown]
	v_add_f64_e32 v[106:107], v[60:61], v[20:21]
	v_add_f64_e64 v[120:121], v[60:61], -v[20:21]
	s_mov_b32 s24, 0x2b2883cd
	s_mov_b32 s28, 0x7c9e640b
	;; [unrolled: 1-line block ×11, first 2 shown]
	v_mul_f64_e32 v[140:141], s[12:13], v[142:143]
	s_wait_alu 0xfffe
	v_mul_f64_e32 v[144:145], s[2:3], v[132:133]
	s_mov_b32 s39, 0x3fefdd0d
	v_mul_f64_e32 v[136:137], s[14:15], v[146:147]
	s_mov_b32 s33, exec_lo
	v_mul_f64_e32 v[138:139], s[6:7], v[130:131]
	v_mul_f64_e32 v[152:153], s[16:17], v[114:115]
	;; [unrolled: 1-line block ×7, first 2 shown]
	v_fma_f64 v[0:1], v[134:135], s[2:3], -v[140:141]
	v_fma_f64 v[2:3], v[148:149], s[12:13], v[144:145]
	v_fma_f64 v[28:29], v[128:129], s[6:7], -v[136:137]
	v_fma_f64 v[30:31], v[150:151], s[14:15], v[138:139]
	v_fma_f64 v[36:37], v[108:109], s[10:11], -v[152:153]
	v_fma_f64 v[38:39], v[126:127], s[16:17], v[154:155]
	v_fma_f64 v[40:41], v[98:99], s[18:19], -v[156:157]
	v_fma_f64 v[42:43], v[124:125], s[22:23], v[158:159]
	v_fma_f64 v[88:89], v[106:107], s[20:21], -v[160:161]
	v_fma_f64 v[112:113], v[120:121], s[26:27], v[162:163]
	v_add_f64_e32 v[0:1], v[24:25], v[0:1]
	v_add_f64_e32 v[2:3], v[26:27], v[2:3]
	s_delay_alu instid0(VALU_DEP_2) | instskip(NEXT) | instid1(VALU_DEP_2)
	v_add_f64_e32 v[0:1], v[28:29], v[0:1]
	v_add_f64_e32 v[2:3], v[30:31], v[2:3]
	ds_load_b128 v[28:31], v176 offset:9504
	ds_load_b128 v[68:71], v176 offset:5184
	;; [unrolled: 1-line block ×4, first 2 shown]
	s_wait_dscnt 0x2
	v_add_f64_e64 v[110:111], v[70:71], -v[30:31]
	v_add_f64_e32 v[90:91], v[70:71], v[30:31]
	v_add_f64_e32 v[96:97], v[68:69], v[28:29]
	v_add_f64_e64 v[118:119], v[68:69], -v[28:29]
	s_wait_dscnt 0x0
	v_add_f64_e64 v[102:103], v[66:67], -v[34:35]
	v_add_f64_e32 v[84:85], v[66:67], v[34:35]
	v_add_f64_e32 v[94:95], v[64:65], v[32:33]
	v_add_f64_e64 v[116:117], v[64:65], -v[32:33]
	v_add_f64_e32 v[0:1], v[36:37], v[0:1]
	v_add_f64_e32 v[2:3], v[38:39], v[2:3]
	v_mul_f64_e32 v[164:165], s[28:29], v[110:111]
	v_mul_f64_e32 v[166:167], s[24:25], v[90:91]
	v_mul_f64_e32 v[168:169], s[36:37], v[102:103]
	v_mul_f64_e32 v[172:173], s[34:35], v[84:85]
	v_add_f64_e32 v[0:1], v[40:41], v[0:1]
	v_add_f64_e32 v[2:3], v[42:43], v[2:3]
	ds_load_b128 v[40:43], v176 offset:6912
	ds_load_b128 v[36:39], v176 offset:7776
	global_wb scope:SCOPE_SE
	s_wait_dscnt 0x0
	s_barrier_signal -1
	s_barrier_wait -1
	global_inv scope:SCOPE_SE
	v_add_f64_e64 v[104:105], v[42:43], -v[38:39]
	v_add_f64_e32 v[82:83], v[42:43], v[38:39]
	v_fma_f64 v[177:178], v[96:97], s[24:25], -v[164:165]
	v_fma_f64 v[179:180], v[118:119], s[28:29], v[166:167]
	v_fma_f64 v[181:182], v[94:95], s[34:35], -v[168:169]
	v_fma_f64 v[183:184], v[116:117], s[36:37], v[172:173]
	v_add_f64_e32 v[0:1], v[88:89], v[0:1]
	v_add_f64_e32 v[2:3], v[112:113], v[2:3]
	;; [unrolled: 1-line block ×3, first 2 shown]
	v_add_f64_e64 v[112:113], v[40:41], -v[36:37]
	v_mul_f64_e32 v[170:171], s[38:39], v[104:105]
	v_mul_f64_e32 v[174:175], s[30:31], v[82:83]
	v_add_f64_e32 v[0:1], v[177:178], v[0:1]
	v_add_f64_e32 v[2:3], v[179:180], v[2:3]
	s_delay_alu instid0(VALU_DEP_4) | instskip(NEXT) | instid1(VALU_DEP_4)
	v_fma_f64 v[177:178], v[88:89], s[30:31], -v[170:171]
	v_fma_f64 v[179:180], v[112:113], s[38:39], v[174:175]
	s_delay_alu instid0(VALU_DEP_4) | instskip(NEXT) | instid1(VALU_DEP_4)
	v_add_f64_e32 v[0:1], v[181:182], v[0:1]
	v_add_f64_e32 v[2:3], v[183:184], v[2:3]
	s_delay_alu instid0(VALU_DEP_2) | instskip(NEXT) | instid1(VALU_DEP_2)
	v_add_f64_e32 v[0:1], v[177:178], v[0:1]
	v_add_f64_e32 v[2:3], v[179:180], v[2:3]
	v_cmpx_gt_u32_e32 54, v72
	s_cbranch_execz .LBB0_21
; %bb.20:
	v_add_f64_e32 v[44:45], v[24:25], v[44:45]
	v_add_f64_e32 v[46:47], v[26:27], v[46:47]
	v_mul_f64_e32 v[177:178], s[22:23], v[124:125]
	v_mul_f64_e32 v[181:182], s[14:15], v[150:151]
	s_mov_b32 s41, 0xbfefdd0d
	s_mov_b32 s40, s38
	s_mov_b32 s49, 0xbfeca52d
	s_mov_b32 s48, s28
	s_mov_b32 s53, 0xbfe58eea
	s_mov_b32 s52, s22
	s_mov_b32 s43, 0xbfd71e95
	s_mov_b32 s42, s14
	v_mul_f64_e32 v[179:180], s[16:17], v[126:127]
	v_mul_f64_e32 v[183:184], s[30:31], v[88:89]
	s_clause 0x1
	scratch_store_b64 off, v[185:186], off
	scratch_store_b64 off, v[187:188], off offset:8
	v_mul_f64_e32 v[185:186], s[34:35], v[94:95]
	v_mul_f64_e32 v[187:188], s[24:25], v[96:97]
	v_mul_f64_e32 v[191:192], s[18:19], v[98:99]
	v_mul_f64_e32 v[193:194], s[10:11], v[108:109]
	v_mul_f64_e32 v[195:196], s[6:7], v[128:129]
	v_mul_f64_e32 v[197:198], s[28:29], v[150:151]
	v_mul_f64_e32 v[199:200], s[12:13], v[150:151]
	v_mul_f64_e32 v[201:202], s[26:27], v[150:151]
	v_mul_f64_e32 v[203:204], s[28:29], v[146:147]
	v_mul_f64_e32 v[205:206], s[12:13], v[146:147]
	v_mul_f64_e32 v[213:214], s[40:41], v[148:149]
	v_mul_f64_e32 v[215:216], s[40:41], v[142:143]
	v_mul_f64_e32 v[217:218], s[48:49], v[148:149]
	v_mul_f64_e32 v[219:220], s[48:49], v[142:143]
	v_mul_f64_e32 v[221:222], s[52:53], v[148:149]
	v_mul_f64_e32 v[223:224], s[52:53], v[142:143]
	s_mov_b32 s45, 0x3feec746
	s_mov_b32 s44, s36
	;; [unrolled: 1-line block ×4, first 2 shown]
	v_mul_f64_e32 v[207:208], s[26:27], v[146:147]
	v_mul_f64_e32 v[227:228], s[44:45], v[150:151]
	v_add_f64_e32 v[44:45], v[44:45], v[52:53]
	v_add_f64_e32 v[46:47], v[46:47], v[54:55]
	v_mul_f64_e32 v[52:53], s[16:17], v[148:149]
	v_mul_f64_e32 v[54:55], s[16:17], v[142:143]
	v_add_f64_e64 v[158:159], v[158:159], -v[177:178]
	v_add_f64_e64 v[177:178], v[138:139], -v[181:182]
	v_mul_f64_e32 v[229:230], s[46:47], v[150:151]
	v_mul_f64_e32 v[231:232], s[40:41], v[150:151]
	;; [unrolled: 1-line block ×7, first 2 shown]
	v_add_f64_e64 v[154:155], v[154:155], -v[179:180]
	v_mul_f64_e32 v[209:210], s[22:23], v[126:127]
	v_mul_f64_e32 v[211:212], s[22:23], v[114:115]
	;; [unrolled: 1-line block ×4, first 2 shown]
	v_add_f64_e32 v[156:157], v[191:192], v[156:157]
	v_add_f64_e32 v[152:153], v[193:194], v[152:153]
	v_mul_f64_e32 v[243:244], s[42:43], v[126:127]
	v_mul_f64_e32 v[245:246], s[42:43], v[114:115]
	v_fma_f64 v[179:180], v[130:131], s[2:3], v[199:200]
	v_fma_f64 v[181:182], v[130:131], s[2:3], -v[199:200]
	s_mov_b32 s51, 0x3fe9895b
	s_mov_b32 s50, s26
	v_fma_f64 v[193:194], v[132:133], s[30:31], -v[213:214]
	v_fma_f64 v[191:192], v[134:135], s[30:31], -v[215:216]
	;; [unrolled: 1-line block ×3, first 2 shown]
	v_add_f64_e32 v[44:45], v[44:45], v[48:49]
	v_add_f64_e32 v[46:47], v[46:47], v[50:51]
	v_mul_f64_e32 v[48:49], s[12:13], v[148:149]
	v_mul_f64_e32 v[50:51], s[2:3], v[134:135]
	v_add_f64_e32 v[193:194], v[26:27], v[193:194]
	v_add_f64_e32 v[191:192], v[24:25], v[191:192]
	;; [unrolled: 1-line block ×4, first 2 shown]
	v_mul_f64_e32 v[56:57], s[26:27], v[148:149]
	v_mul_f64_e32 v[58:59], s[26:27], v[142:143]
	v_add_f64_e64 v[48:49], v[144:145], -v[48:49]
	v_add_f64_e32 v[140:141], v[50:51], v[140:141]
	v_fma_f64 v[144:145], v[132:133], s[10:11], -v[52:53]
	v_add_f64_e32 v[181:182], v[181:182], v[193:194]
	v_mul_f64_e32 v[193:194], s[38:39], v[120:121]
	v_add_f64_e32 v[44:45], v[44:45], v[60:61]
	v_add_f64_e32 v[46:47], v[46:47], v[62:63]
	v_mul_f64_e32 v[60:61], s[36:37], v[148:149]
	v_mul_f64_e32 v[62:63], s[36:37], v[142:143]
	;; [unrolled: 1-line block ×4, first 2 shown]
	v_add_f64_e32 v[249:250], v[26:27], v[48:49]
	v_add_f64_e32 v[251:252], v[24:25], v[140:141]
	;; [unrolled: 1-line block ×3, first 2 shown]
	v_fma_f64 v[140:141], v[128:129], s[20:21], v[207:208]
	v_add_f64_e32 v[44:45], v[44:45], v[68:69]
	v_add_f64_e32 v[46:47], v[46:47], v[70:71]
	v_mul_f64_e32 v[68:69], s[36:37], v[116:117]
	v_mul_f64_e32 v[70:71], s[26:27], v[120:121]
	v_add_f64_e32 v[177:178], v[177:178], v[249:250]
	v_add_f64_e32 v[44:45], v[44:45], v[64:65]
	;; [unrolled: 1-line block ×3, first 2 shown]
	v_mul_f64_e32 v[64:65], s[38:39], v[112:113]
	v_mul_f64_e32 v[66:67], s[28:29], v[118:119]
	v_add_f64_e64 v[162:163], v[162:163], -v[70:71]
	v_fma_f64 v[70:71], v[134:135], s[20:21], -v[58:59]
	v_fma_f64 v[58:59], v[134:135], s[20:21], v[58:59]
	v_add_f64_e32 v[154:155], v[154:155], v[177:178]
	v_add_f64_e32 v[225:226], v[44:45], v[40:41]
	;; [unrolled: 1-line block ×3, first 2 shown]
	v_add_f64_e64 v[40:41], v[174:175], -v[64:65]
	scratch_store_b64 off, v[189:190], off offset:16 ; 8-byte Folded Spill
	v_mul_f64_e32 v[189:190], s[20:21], v[106:107]
	v_fma_f64 v[64:65], v[132:133], s[10:11], v[52:53]
	v_add_f64_e64 v[44:45], v[172:173], -v[68:69]
	v_fma_f64 v[68:69], v[134:135], s[10:11], -v[54:55]
	v_fma_f64 v[172:173], v[134:135], s[10:11], v[54:55]
	v_add_f64_e64 v[52:53], v[166:167], -v[66:67]
	v_fma_f64 v[66:67], v[132:133], s[20:21], v[56:57]
	v_fma_f64 v[56:57], v[132:133], s[20:21], -v[56:57]
	v_fma_f64 v[166:167], v[132:133], s[34:35], v[60:61]
	v_fma_f64 v[174:175], v[134:135], s[34:35], -v[62:63]
	v_fma_f64 v[60:61], v[132:133], s[34:35], -v[60:61]
	v_fma_f64 v[62:63], v[134:135], s[34:35], v[62:63]
	v_add_f64_e32 v[42:43], v[183:184], v[170:171]
	v_add_f64_e32 v[54:55], v[187:188], v[164:165]
	;; [unrolled: 1-line block ×3, first 2 shown]
	v_fma_f64 v[170:171], v[130:131], s[24:25], -v[197:198]
	v_fma_f64 v[183:184], v[128:129], s[24:25], -v[203:204]
	;; [unrolled: 1-line block ×3, first 2 shown]
	v_fma_f64 v[136:137], v[132:133], s[30:31], v[213:214]
	v_fma_f64 v[195:196], v[134:135], s[30:31], v[215:216]
	v_fma_f64 v[213:214], v[134:135], s[18:19], -v[223:224]
	v_fma_f64 v[215:216], v[132:133], s[18:19], -v[221:222]
	v_add_f64_e32 v[77:78], v[24:25], v[70:71]
	v_add_f64_e32 v[48:49], v[24:25], v[58:59]
	v_fma_f64 v[70:71], v[130:131], s[18:19], -v[150:151]
	v_add_f64_e32 v[154:155], v[158:159], v[154:155]
	v_mul_f64_e32 v[158:159], s[38:39], v[118:119]
	v_add_f64_e32 v[138:139], v[225:226], v[36:37]
	v_add_f64_e32 v[50:51], v[46:47], v[38:39]
	scratch_store_b64 off, v[40:41], off offset:24 ; 8-byte Folded Spill
	v_add_f64_e32 v[40:41], v[185:186], v[168:169]
	v_add_f64_e32 v[160:161], v[189:190], v[160:161]
	v_fma_f64 v[168:169], v[130:131], s[24:25], v[197:198]
	v_fma_f64 v[46:47], v[130:131], s[20:21], v[201:202]
	v_fma_f64 v[38:39], v[130:131], s[20:21], -v[201:202]
	v_fma_f64 v[185:186], v[128:129], s[24:25], v[203:204]
	v_fma_f64 v[189:190], v[128:129], s[2:3], v[205:206]
	;; [unrolled: 1-line block ×3, first 2 shown]
	v_fma_f64 v[201:202], v[132:133], s[24:25], -v[217:218]
	v_fma_f64 v[203:204], v[134:135], s[24:25], v[219:220]
	v_fma_f64 v[205:206], v[132:133], s[18:19], v[221:222]
	;; [unrolled: 1-line block ×4, first 2 shown]
	v_fma_f64 v[148:149], v[132:133], s[6:7], -v[148:149]
	v_fma_f64 v[221:222], v[134:135], s[6:7], -v[142:143]
	v_fma_f64 v[142:143], v[134:135], s[6:7], v[142:143]
	v_fma_f64 v[223:224], v[130:131], s[34:35], v[227:228]
	v_fma_f64 v[225:226], v[130:131], s[34:35], -v[227:228]
	v_fma_f64 v[227:228], v[130:131], s[10:11], v[229:230]
	v_fma_f64 v[229:230], v[130:131], s[10:11], -v[229:230]
	v_fma_f64 v[36:37], v[130:131], s[30:31], -v[231:232]
	v_add_f64_e32 v[253:254], v[26:27], v[64:65]
	v_add_f64_e32 v[73:74], v[24:25], v[68:69]
	;; [unrolled: 1-line block ×10, first 2 shown]
	v_mul_f64_e32 v[170:171], s[50:51], v[122:123]
	v_add_f64_e32 v[187:188], v[187:188], v[191:192]
	v_add_f64_e32 v[154:155], v[162:163], v[154:155]
	v_mul_f64_e32 v[162:163], s[12:13], v[102:103]
	v_add_f64_e32 v[138:139], v[138:139], v[32:33]
	v_add_f64_e32 v[247:248], v[50:51], v[34:35]
	v_fma_f64 v[50:51], v[130:131], s[30:31], v[231:232]
	v_fma_f64 v[231:232], v[128:129], s[34:35], -v[233:234]
	v_fma_f64 v[233:234], v[128:129], s[34:35], v[233:234]
	v_add_f64_e32 v[32:33], v[26:27], v[56:57]
	v_add_f64_e32 v[56:57], v[26:27], v[60:61]
	;; [unrolled: 1-line block ×15, first 2 shown]
	v_fma_f64 v[24:25], v[130:131], s[18:19], v[150:151]
	v_fma_f64 v[148:149], v[128:129], s[10:11], -v[235:236]
	v_fma_f64 v[142:143], v[128:129], s[20:21], -v[207:208]
	v_fma_f64 v[150:151], v[128:129], s[10:11], v[235:236]
	v_fma_f64 v[130:131], v[128:129], s[30:31], v[237:238]
	v_fma_f64 v[26:27], v[128:129], s[18:19], -v[146:147]
	v_mul_f64_e32 v[207:208], s[50:51], v[124:125]
	v_add_f64_e32 v[168:169], v[168:169], v[253:254]
	v_fma_f64 v[213:214], v[80:81], s[30:31], v[239:240]
	v_add_f64_e32 v[73:74], v[183:184], v[73:74]
	v_fma_f64 v[183:184], v[108:109], s[30:31], -v[241:242]
	v_fma_f64 v[215:216], v[80:81], s[30:31], -v[239:240]
	v_add_f64_e32 v[172:173], v[185:186], v[172:173]
	v_mul_f64_e32 v[185:186], s[16:17], v[124:125]
	v_fma_f64 v[217:218], v[108:109], s[30:31], v[241:242]
	v_add_f64_e32 v[75:76], v[223:224], v[75:76]
	v_fma_f64 v[219:220], v[80:81], s[6:7], v[243:244]
	v_fma_f64 v[221:222], v[108:109], s[6:7], -v[245:246]
	v_add_f64_e32 v[28:29], v[138:139], v[28:29]
	v_fma_f64 v[138:139], v[128:129], s[30:31], -v[237:238]
	v_fma_f64 v[128:129], v[128:129], s[18:19], v[146:147]
	v_mul_f64_e32 v[146:147], s[44:45], v[126:127]
	v_add_f64_e32 v[77:78], v[231:232], v[77:78]
	v_add_f64_e32 v[32:33], v[225:226], v[32:33]
	v_mul_f64_e32 v[223:224], s[16:17], v[122:123]
	v_fma_f64 v[225:226], v[80:81], s[6:7], -v[243:244]
	v_add_f64_e32 v[48:49], v[233:234], v[48:49]
	v_mul_f64_e32 v[231:232], s[48:49], v[124:125]
	v_fma_f64 v[233:234], v[108:109], s[6:7], v[245:246]
	v_add_f64_e32 v[166:167], v[227:228], v[166:167]
	v_fma_f64 v[227:228], v[80:81], s[18:19], v[209:210]
	v_add_f64_e32 v[56:57], v[229:230], v[56:57]
	v_mul_f64_e32 v[229:230], s[48:49], v[122:123]
	v_fma_f64 v[209:210], v[80:81], s[18:19], -v[209:210]
	v_add_f64_e32 v[60:61], v[179:180], v[60:61]
	v_mul_f64_e32 v[205:206], s[44:45], v[114:115]
	v_add_f64_e32 v[152:153], v[152:153], v[164:165]
	v_mul_f64_e32 v[164:165], s[38:39], v[100:101]
	v_add_f64_e32 v[34:35], v[189:190], v[34:35]
	v_add_f64_e32 v[148:149], v[148:149], v[174:175]
	v_fma_f64 v[174:175], v[108:109], s[18:19], -v[211:212]
	v_add_f64_e32 v[58:59], v[150:151], v[58:59]
	v_mul_f64_e32 v[150:151], s[14:15], v[124:125]
	v_fma_f64 v[211:212], v[108:109], s[18:19], v[211:212]
	v_mul_f64_e32 v[189:190], s[48:49], v[120:121]
	v_add_f64_e32 v[52:53], v[52:53], v[154:155]
	v_add_f64_e32 v[168:169], v[213:214], v[168:169]
	v_mul_f64_e32 v[213:214], s[42:43], v[120:121]
	v_add_f64_e32 v[73:74], v[183:184], v[73:74]
	v_fma_f64 v[183:184], v[92:93], s[20:21], v[207:208]
	v_add_f64_e32 v[144:145], v[215:216], v[144:145]
	v_fma_f64 v[215:216], v[98:99], s[20:21], -v[170:171]
	v_fma_f64 v[207:208], v[92:93], s[20:21], -v[207:208]
	v_add_f64_e32 v[172:173], v[217:218], v[172:173]
	v_mul_f64_e32 v[217:218], s[42:43], v[100:101]
	v_fma_f64 v[170:171], v[98:99], s[20:21], v[170:171]
	v_add_f64_e32 v[75:76], v[219:220], v[75:76]
	v_fma_f64 v[219:220], v[92:93], s[10:11], v[185:186]
	v_fma_f64 v[185:186], v[92:93], s[10:11], -v[185:186]
	v_fma_f64 v[191:192], v[80:81], s[34:35], v[146:147]
	v_add_f64_e32 v[77:78], v[221:222], v[77:78]
	v_mul_f64_e32 v[221:222], s[12:13], v[120:121]
	v_fma_f64 v[146:147], v[80:81], s[34:35], -v[146:147]
	v_add_f64_e32 v[32:33], v[225:226], v[32:33]
	v_fma_f64 v[225:226], v[98:99], s[10:11], -v[223:224]
	v_fma_f64 v[223:224], v[98:99], s[10:11], v[223:224]
	v_add_f64_e32 v[48:49], v[233:234], v[48:49]
	v_mul_f64_e32 v[233:234], s[12:13], v[100:101]
	v_add_f64_e32 v[166:167], v[227:228], v[166:167]
	v_fma_f64 v[227:228], v[92:93], s[24:25], v[231:232]
	v_fma_f64 v[231:232], v[92:93], s[24:25], -v[231:232]
	v_add_f64_e32 v[56:57], v[209:210], v[56:57]
	v_fma_f64 v[209:210], v[98:99], s[24:25], -v[229:230]
	v_fma_f64 v[177:178], v[108:109], s[34:35], -v[205:206]
	v_add_f64_e32 v[152:153], v[156:157], v[152:153]
	v_mul_f64_e32 v[179:180], s[14:15], v[122:123]
	v_fma_f64 v[205:206], v[108:109], s[34:35], v[205:206]
	v_add_f64_e32 v[134:135], v[142:143], v[134:135]
	v_add_f64_e32 v[148:149], v[174:175], v[148:149]
	v_mul_f64_e32 v[174:175], s[12:13], v[118:119]
	v_add_f64_e32 v[38:39], v[38:39], v[132:133]
	v_add_f64_e32 v[58:59], v[211:212], v[58:59]
	v_mul_f64_e32 v[211:212], s[12:13], v[110:111]
	v_add_f64_e32 v[68:69], v[140:141], v[68:69]
	v_add_f64_e32 v[50:51], v[50:51], v[62:63]
	;; [unrolled: 1-line block ×5, first 2 shown]
	v_fma_f64 v[183:184], v[86:87], s[6:7], v[213:214]
	v_add_f64_e32 v[73:74], v[215:216], v[73:74]
	v_add_f64_e32 v[144:145], v[207:208], v[144:145]
	v_fma_f64 v[213:214], v[86:87], s[6:7], -v[213:214]
	v_fma_f64 v[207:208], v[106:107], s[6:7], -v[217:218]
	v_add_f64_e32 v[170:171], v[170:171], v[172:173]
	v_fma_f64 v[217:218], v[106:107], s[6:7], v[217:218]
	v_add_f64_e32 v[75:76], v[219:220], v[75:76]
	v_mul_f64_e32 v[219:220], s[52:53], v[118:119]
	v_add_f64_e32 v[60:61], v[191:192], v[60:61]
	v_fma_f64 v[191:192], v[92:93], s[6:7], v[150:151]
	v_mul_f64_e32 v[172:173], s[22:23], v[116:117]
	v_add_f64_e32 v[146:147], v[146:147], v[181:182]
	v_add_f64_e32 v[32:33], v[185:186], v[32:33]
	;; [unrolled: 1-line block ×3, first 2 shown]
	v_fma_f64 v[225:226], v[86:87], s[30:31], v[193:194]
	v_fma_f64 v[185:186], v[106:107], s[30:31], -v[164:165]
	v_add_f64_e32 v[48:49], v[223:224], v[48:49]
	v_mul_f64_e32 v[223:224], s[52:53], v[110:111]
	v_fma_f64 v[193:194], v[86:87], s[30:31], -v[193:194]
	v_add_f64_e32 v[166:167], v[227:228], v[166:167]
	v_fma_f64 v[164:165], v[106:107], s[30:31], v[164:165]
	v_add_f64_e32 v[56:57], v[231:232], v[56:57]
	v_fma_f64 v[231:232], v[106:107], s[2:3], -v[233:234]
	v_add_f64_e32 v[177:178], v[177:178], v[187:188]
	v_mul_f64_e32 v[187:188], s[38:39], v[110:111]
	s_mov_b32 s39, 0x3fc7851a
	s_mov_b32 s38, s12
	v_add_f64_e32 v[148:149], v[209:210], v[148:149]
	v_fma_f64 v[209:210], v[86:87], s[2:3], v[221:222]
	v_mul_f64_e32 v[227:228], s[22:23], v[102:103]
	v_fma_f64 v[221:222], v[86:87], s[2:3], -v[221:222]
	v_mul_f64_e32 v[181:182], s[26:27], v[126:127]
	v_add_f64_e32 v[152:153], v[160:161], v[152:153]
	v_fma_f64 v[160:161], v[90:91], s[2:3], v[174:175]
	v_fma_f64 v[174:175], v[90:91], s[2:3], -v[174:175]
	s_wait_alu 0xfffe
	v_mul_f64_e32 v[154:155], s[38:39], v[114:115]
	v_fma_f64 v[150:151], v[92:93], s[6:7], -v[150:151]
	v_add_f64_e32 v[168:169], v[183:184], v[168:169]
	v_mul_f64_e32 v[183:184], s[26:27], v[114:115]
	v_add_f64_e32 v[138:139], v[138:139], v[195:196]
	v_add_f64_e32 v[144:145], v[213:214], v[144:145]
	v_add_f64_e32 v[73:74], v[207:208], v[73:74]
	v_fma_f64 v[213:214], v[96:97], s[2:3], -v[211:212]
	v_add_f64_e32 v[170:171], v[217:218], v[170:171]
	v_fma_f64 v[211:212], v[96:97], s[2:3], v[211:212]
	v_mul_f64_e32 v[217:218], s[48:49], v[100:101]
	v_add_f64_e32 v[36:37], v[36:37], v[197:198]
	v_add_f64_e32 v[60:61], v[191:192], v[60:61]
	v_fma_f64 v[191:192], v[86:87], s[24:25], v[189:190]
	v_add_f64_e32 v[44:45], v[44:45], v[52:53]
	v_add_f64_e32 v[20:21], v[28:29], v[20:21]
	;; [unrolled: 1-line block ×4, first 2 shown]
	v_fma_f64 v[225:226], v[90:91], s[18:19], v[219:220]
	v_fma_f64 v[219:220], v[90:91], s[18:19], -v[219:220]
	v_add_f64_e32 v[77:78], v[185:186], v[77:78]
	v_add_f64_e32 v[32:33], v[193:194], v[32:33]
	v_fma_f64 v[193:194], v[96:97], s[18:19], -v[223:224]
	v_add_f64_e32 v[48:49], v[164:165], v[48:49]
	v_fma_f64 v[223:224], v[96:97], s[18:19], v[223:224]
	v_mul_f64_e32 v[185:186], s[12:13], v[124:125]
	v_mul_f64_e32 v[164:165], s[12:13], v[122:123]
	v_fma_f64 v[229:230], v[98:99], s[24:25], v[229:230]
	v_mul_f64_e32 v[156:157], s[16:17], v[118:119]
	v_fma_f64 v[233:234], v[106:107], s[2:3], v[233:234]
	v_add_f64_e32 v[148:149], v[231:232], v[148:149]
	v_add_f64_e32 v[166:167], v[209:210], v[166:167]
	v_mul_f64_e32 v[209:210], s[42:43], v[116:117]
	v_fma_f64 v[231:232], v[90:91], s[30:31], v[158:159]
	v_add_f64_e32 v[56:57], v[221:222], v[56:57]
	v_add_f64_e32 v[54:55], v[54:55], v[152:153]
	v_mul_f64_e32 v[152:153], s[44:45], v[124:125]
	v_mul_f64_e32 v[124:125], s[40:41], v[124:125]
	v_fma_f64 v[158:159], v[90:91], s[30:31], -v[158:159]
	v_fma_f64 v[132:133], v[108:109], s[2:3], -v[154:155]
	v_add_f64_e32 v[160:161], v[160:161], v[168:169]
	v_mul_f64_e32 v[168:169], s[44:45], v[122:123]
	v_fma_f64 v[154:155], v[108:109], s[2:3], v[154:155]
	v_add_f64_e32 v[144:145], v[174:175], v[144:145]
	v_fma_f64 v[174:175], v[84:85], s[18:19], v[172:173]
	v_add_f64_e32 v[73:74], v[213:214], v[73:74]
	v_fma_f64 v[172:173], v[84:85], s[18:19], -v[172:173]
	v_add_f64_e32 v[170:171], v[211:212], v[170:171]
	v_fma_f64 v[136:137], v[108:109], s[20:21], -v[183:184]
	;; [unrolled: 2-line block ×3, first 2 shown]
	v_add_f64_e32 v[60:61], v[191:192], v[60:61]
	v_mul_f64_e32 v[191:192], s[38:39], v[126:127]
	v_mul_f64_e32 v[126:127], s[48:49], v[126:127]
	v_add_f64_e32 v[16:17], v[20:21], v[16:17]
	v_mul_f64_e32 v[20:21], s[28:29], v[116:117]
	v_add_f64_e32 v[75:76], v[225:226], v[75:76]
	v_fma_f64 v[225:226], v[94:95], s[18:19], -v[227:228]
	v_fma_f64 v[227:228], v[94:95], s[18:19], v[227:228]
	v_add_f64_e32 v[32:33], v[219:220], v[32:33]
	v_fma_f64 v[219:220], v[94:95], s[2:3], -v[162:163]
	v_fma_f64 v[162:163], v[94:95], s[2:3], v[162:163]
	v_add_f64_e32 v[48:49], v[223:224], v[48:49]
	v_fma_f64 v[223:224], v[80:81], s[20:21], v[181:182]
	v_fma_f64 v[181:182], v[80:81], s[20:21], -v[181:182]
	v_add_f64_e32 v[58:59], v[229:230], v[58:59]
	v_mul_f64_e32 v[229:230], s[12:13], v[116:117]
	v_fma_f64 v[187:188], v[96:97], s[30:31], v[187:188]
	v_fma_f64 v[34:35], v[86:87], s[24:25], -v[189:190]
	scratch_load_b64 v[189:190], off, off offset:16 ; 8-byte Folded Reload
	v_mul_f64_e32 v[114:115], s[48:49], v[114:115]
	v_add_f64_e32 v[166:167], v[231:232], v[166:167]
	v_fma_f64 v[231:232], v[84:85], s[6:7], v[209:210]
	v_add_f64_e32 v[40:41], v[40:41], v[54:55]
	v_mul_f64_e32 v[122:123], s[40:41], v[122:123]
	v_fma_f64 v[183:184], v[108:109], s[20:21], v[183:184]
	v_add_f64_e32 v[56:57], v[158:159], v[56:57]
	v_fma_f64 v[158:159], v[98:99], s[6:7], v[179:180]
	v_add_f64_e32 v[132:133], v[132:133], v[134:135]
	v_add_f64_e32 v[130:131], v[130:131], v[199:200]
	;; [unrolled: 1-line block ×3, first 2 shown]
	v_fma_f64 v[154:155], v[98:99], s[34:35], -v[168:169]
	v_add_f64_e32 v[52:53], v[174:175], v[160:161]
	v_mul_f64_e32 v[160:161], s[22:23], v[120:121]
	v_add_f64_e32 v[66:67], v[128:129], v[66:67]
	v_add_f64_e32 v[24:25], v[24:25], v[203:204]
	v_add_f64_e32 v[136:137], v[136:137], v[138:139]
	v_fma_f64 v[138:139], v[98:99], s[2:3], v[164:165]
	v_fma_f64 v[164:165], v[98:99], s[2:3], -v[164:165]
	v_add_f64_e32 v[26:27], v[26:27], v[201:202]
	v_fma_f64 v[142:143], v[80:81], s[2:3], v[191:192]
	v_fma_f64 v[140:141], v[80:81], s[24:25], -v[126:127]
	v_add_f64_e32 v[12:13], v[16:17], v[12:13]
	v_fma_f64 v[191:192], v[80:81], s[2:3], -v[191:192]
	v_fma_f64 v[79:80], v[80:81], s[24:25], v[126:127]
	v_add_f64_e32 v[54:55], v[225:226], v[73:74]
	v_add_f64_e32 v[73:74], v[172:173], v[144:145]
	;; [unrolled: 1-line block ×3, first 2 shown]
	v_fma_f64 v[170:171], v[92:93], s[2:3], v[185:186]
	v_fma_f64 v[172:173], v[92:93], s[2:3], -v[185:186]
	v_add_f64_e32 v[48:49], v[162:163], v[48:49]
	v_mul_f64_e32 v[162:163], s[22:23], v[100:101]
	v_add_f64_e32 v[50:51], v[223:224], v[50:51]
	v_add_f64_e32 v[36:37], v[181:182], v[36:37]
	v_fma_f64 v[181:182], v[106:107], s[24:25], v[217:218]
	v_add_f64_e32 v[58:59], v[233:234], v[58:59]
	v_mul_f64_e32 v[233:234], s[42:43], v[102:103]
	v_add_f64_e32 v[30:31], v[247:248], v[30:31]
	v_fma_f64 v[62:63], v[108:109], s[24:25], v[114:115]
	v_fma_f64 v[108:109], v[108:109], s[24:25], -v[114:115]
	v_add_f64_e32 v[146:147], v[231:232], v[166:167]
	v_fma_f64 v[166:167], v[98:99], s[34:35], v[168:169]
	v_mul_f64_e32 v[168:169], s[46:47], v[120:121]
	v_mul_f64_e32 v[120:121], s[36:37], v[120:121]
	v_fma_f64 v[215:216], v[98:99], s[6:7], -v[179:180]
	v_add_f64_e32 v[28:29], v[158:159], v[28:29]
	v_mul_f64_e32 v[158:159], s[42:43], v[118:119]
	v_fma_f64 v[134:135], v[92:93], s[34:35], v[152:153]
	v_fma_f64 v[152:153], v[92:93], s[34:35], -v[152:153]
	v_add_f64_e32 v[132:133], v[154:155], v[132:133]
	v_add_f64_e32 v[130:131], v[183:184], v[130:131]
	v_mul_f64_e32 v[174:175], s[36:37], v[100:101]
	v_mul_f64_e32 v[100:101], s[46:47], v[100:101]
	v_fma_f64 v[211:212], v[106:107], s[24:25], -v[217:218]
	v_fma_f64 v[213:214], v[90:91], s[10:11], v[156:157]
	v_add_f64_e32 v[34:35], v[34:35], v[70:71]
	v_add_f64_e32 v[136:137], v[164:165], v[136:137]
	v_mul_f64_e32 v[164:165], s[50:51], v[116:117]
	v_add_f64_e32 v[46:47], v[142:143], v[46:47]
	v_add_f64_e32 v[64:65], v[140:141], v[64:65]
	v_fma_f64 v[140:141], v[92:93], s[30:31], -v[124:125]
	v_add_f64_e32 v[38:39], v[191:192], v[38:39]
	v_fma_f64 v[92:93], v[92:93], s[30:31], v[124:125]
	v_add_f64_e32 v[24:25], v[79:80], v[24:25]
	v_fma_f64 v[156:157], v[90:91], s[10:11], -v[156:157]
	v_mul_f64_e32 v[207:208], s[36:37], v[104:105]
	v_mul_f64_e32 v[150:151], s[28:29], v[104:105]
	;; [unrolled: 1-line block ×4, first 2 shown]
	v_fma_f64 v[154:155], v[106:107], s[18:19], v[162:163]
	v_add_f64_e32 v[50:51], v[170:171], v[50:51]
	v_add_f64_e32 v[36:37], v[172:173], v[36:37]
	v_fma_f64 v[162:163], v[106:107], s[18:19], -v[162:163]
	v_add_f64_e32 v[58:59], v[187:188], v[58:59]
	v_fma_f64 v[185:186], v[94:95], s[6:7], v[233:234]
	scratch_load_b64 v[187:188], off, off offset:8 ; 8-byte Folded Reload
	v_add_f64_e32 v[62:63], v[62:63], v[66:67]
	v_fma_f64 v[66:67], v[98:99], s[30:31], v[122:123]
	v_fma_f64 v[98:99], v[98:99], s[30:31], -v[122:123]
	v_add_f64_e32 v[68:69], v[166:167], v[68:69]
	v_mul_f64_e32 v[166:167], s[44:45], v[118:119]
	v_mul_f64_e32 v[118:119], s[26:27], v[118:119]
	v_fma_f64 v[170:171], v[86:87], s[34:35], -v[120:121]
	v_add_f64_e32 v[28:29], v[181:182], v[28:29]
	v_mul_f64_e32 v[181:182], s[40:41], v[116:117]
	v_mul_f64_e32 v[116:117], s[16:17], v[116:117]
	v_add_f64_e32 v[26:27], v[108:109], v[26:27]
	v_add_f64_e32 v[22:23], v[30:31], v[22:23]
	;; [unrolled: 1-line block ×3, first 2 shown]
	v_mul_f64_e32 v[108:109], s[16:17], v[110:111]
	v_fma_f64 v[172:173], v[86:87], s[10:11], -v[168:169]
	v_add_f64_e32 v[130:131], v[138:139], v[130:131]
	v_fma_f64 v[138:139], v[106:107], s[34:35], v[174:175]
	v_fma_f64 v[168:169], v[86:87], s[10:11], v[168:169]
	v_mul_f64_e32 v[215:216], s[36:37], v[112:113]
	v_mul_f64_e32 v[30:31], s[28:29], v[112:113]
	v_add_f64_e32 v[46:47], v[134:135], v[46:47]
	v_fma_f64 v[134:135], v[86:87], s[18:19], v[160:161]
	v_add_f64_e32 v[64:65], v[140:141], v[64:65]
	v_add_f64_e32 v[38:39], v[152:153], v[38:39]
	v_fma_f64 v[160:161], v[86:87], s[18:19], -v[160:161]
	v_mul_f64_e32 v[152:153], s[42:43], v[110:111]
	v_mul_f64_e32 v[140:141], s[44:45], v[110:111]
	v_fma_f64 v[86:87], v[86:87], s[34:35], v[120:121]
	v_add_f64_e32 v[24:25], v[92:93], v[24:25]
	v_mul_f64_e32 v[92:93], s[22:23], v[112:113]
	v_add_f64_e32 v[34:35], v[156:157], v[34:35]
	v_add_f64_e32 v[77:78], v[193:194], v[77:78]
	v_fma_f64 v[193:194], v[84:85], s[2:3], v[229:230]
	v_fma_f64 v[229:230], v[84:85], s[2:3], -v[229:230]
	v_add_f64_e32 v[132:133], v[162:163], v[132:133]
	v_fma_f64 v[162:163], v[84:85], s[20:21], v[164:165]
	v_add_f64_e32 v[58:59], v[185:186], v[58:59]
	v_fma_f64 v[183:184], v[84:85], s[6:7], -v[209:210]
	v_add_f64_e32 v[148:149], v[221:222], v[148:149]
	v_add_f64_e32 v[62:63], v[66:67], v[62:63]
	v_mul_f64_e32 v[66:67], s[26:27], v[110:111]
	v_add_f64_e32 v[68:69], v[154:155], v[68:69]
	v_fma_f64 v[110:111], v[106:107], s[10:11], v[100:101]
	v_fma_f64 v[154:155], v[90:91], s[20:21], -v[118:119]
	v_fma_f64 v[100:101], v[106:107], s[10:11], -v[100:101]
	;; [unrolled: 1-line block ×3, first 2 shown]
	v_mul_f64_e32 v[174:175], s[50:51], v[102:103]
	v_fma_f64 v[221:222], v[94:95], s[6:7], -v[233:234]
	v_add_f64_e32 v[26:27], v[98:99], v[26:27]
	v_add_f64_e32 v[18:19], v[22:23], v[18:19]
	;; [unrolled: 1-line block ×3, first 2 shown]
	v_fma_f64 v[98:99], v[96:97], s[10:11], -v[108:109]
	v_add_f64_e32 v[36:37], v[172:173], v[36:37]
	v_mul_f64_e32 v[172:173], s[28:29], v[102:103]
	v_fma_f64 v[22:23], v[90:91], s[34:35], -v[166:167]
	v_fma_f64 v[108:109], v[96:97], s[10:11], v[108:109]
	v_add_f64_e32 v[50:51], v[168:169], v[50:51]
	v_fma_f64 v[166:167], v[90:91], s[34:35], v[166:167]
	v_mul_f64_e32 v[168:169], s[22:23], v[104:105]
	v_add_f64_e32 v[46:47], v[134:135], v[46:47]
	v_add_f64_e32 v[64:65], v[170:171], v[64:65]
	v_mul_f64_e32 v[134:135], s[40:41], v[102:103]
	v_add_f64_e32 v[38:39], v[160:161], v[38:39]
	v_fma_f64 v[160:161], v[90:91], s[6:7], -v[158:159]
	v_mul_f64_e32 v[102:103], s[16:17], v[102:103]
	v_fma_f64 v[170:171], v[96:97], s[34:35], v[140:141]
	v_fma_f64 v[158:159], v[90:91], s[6:7], v[158:159]
	v_fma_f64 v[140:141], v[96:97], s[34:35], -v[140:141]
	v_fma_f64 v[90:91], v[90:91], s[20:21], v[118:119]
	v_add_f64_e32 v[24:25], v[86:87], v[24:25]
	v_mul_f64_e32 v[118:119], s[16:17], v[112:113]
	v_add_f64_e32 v[60:61], v[213:214], v[60:61]
	v_fma_f64 v[120:121], v[88:89], s[20:21], -v[124:125]
	v_add_f64_e32 v[32:33], v[229:230], v[32:33]
	v_fma_f64 v[70:71], v[82:83], s[24:25], v[30:31]
	v_fma_f64 v[30:31], v[82:83], s[24:25], -v[30:31]
	v_add_f64_e32 v[56:57], v[183:184], v[56:57]
	v_add_f64_e32 v[62:63], v[138:139], v[62:63]
	v_fma_f64 v[138:139], v[96:97], s[20:21], v[66:67]
	v_fma_f64 v[66:67], v[96:97], s[20:21], -v[66:67]
	v_add_f64_e32 v[110:111], v[110:111], v[130:131]
	v_fma_f64 v[130:131], v[96:97], s[6:7], v[152:153]
	v_fma_f64 v[152:153], v[96:97], s[6:7], -v[152:153]
	v_add_f64_e32 v[100:101], v[100:101], v[136:137]
	v_fma_f64 v[86:87], v[94:95], s[20:21], -v[174:175]
	v_fma_f64 v[136:137], v[84:85], s[30:31], -v[181:182]
	v_add_f64_e32 v[26:27], v[106:107], v[26:27]
	v_add_f64_e32 v[14:15], v[18:19], v[14:15]
	v_fma_f64 v[106:107], v[94:95], s[20:21], v[174:175]
	v_add_f64_e32 v[96:97], v[98:99], v[128:129]
	v_fma_f64 v[98:99], v[84:85], s[20:21], -v[164:165]
	v_mul_f64_e32 v[128:129], s[16:17], v[104:105]
	v_mul_f64_e32 v[164:165], s[14:15], v[104:105]
	;; [unrolled: 1-line block ×3, first 2 shown]
	v_fma_f64 v[174:175], v[84:85], s[24:25], -v[20:21]
	v_add_f64_e32 v[22:23], v[22:23], v[36:37]
	v_fma_f64 v[36:37], v[94:95], s[24:25], v[172:173]
	v_add_f64_e32 v[28:29], v[108:109], v[28:29]
	v_add_f64_e32 v[64:65], v[154:155], v[64:65]
	v_fma_f64 v[154:155], v[84:85], s[10:11], -v[116:117]
	v_fma_f64 v[156:157], v[94:95], s[30:31], v[134:135]
	v_add_f64_e32 v[38:39], v[160:161], v[38:39]
	v_mul_f64_e32 v[160:161], s[14:15], v[112:113]
	v_mul_f64_e32 v[112:113], s[12:13], v[112:113]
	v_fma_f64 v[16:17], v[94:95], s[10:11], v[102:103]
	v_fma_f64 v[108:109], v[84:85], s[30:31], v[181:182]
	v_add_f64_e32 v[46:47], v[158:159], v[46:47]
	v_fma_f64 v[20:21], v[84:85], s[24:25], v[20:21]
	v_add_f64_e32 v[50:51], v[166:167], v[50:51]
	;; [unrolled: 2-line block ×3, first 2 shown]
	v_fma_f64 v[90:91], v[94:95], s[10:11], -v[102:103]
	v_fma_f64 v[102:103], v[82:83], s[18:19], v[92:93]
	v_fma_f64 v[92:93], v[82:83], s[18:19], -v[92:93]
	v_fma_f64 v[79:80], v[88:89], s[24:25], -v[150:151]
	v_fma_f64 v[150:151], v[88:89], s[24:25], v[150:151]
	v_add_f64_e32 v[18:19], v[138:139], v[62:63]
	v_fma_f64 v[177:178], v[82:83], s[34:35], -v[215:216]
	v_add_f64_e32 v[62:63], v[170:171], v[110:111]
	v_add_f64_e32 v[68:69], v[130:131], v[68:69]
	v_fma_f64 v[110:111], v[94:95], s[30:31], -v[134:135]
	v_add_f64_e32 v[130:131], v[152:153], v[132:133]
	v_fma_f64 v[132:133], v[94:95], s[24:25], -v[172:173]
	v_add_f64_e32 v[100:101], v[140:141], v[100:101]
	v_add_f64_e32 v[26:27], v[66:67], v[26:27]
	v_add_f64_e32 v[152:153], v[14:15], v[10:11]
	v_fma_f64 v[94:95], v[88:89], s[20:21], v[124:125]
	v_add_f64_e32 v[86:87], v[86:87], v[96:97]
	v_add_f64_e32 v[34:35], v[98:99], v[34:35]
	v_fma_f64 v[98:99], v[82:83], s[10:11], -v[118:119]
	v_fma_f64 v[116:117], v[88:89], s[10:11], v[128:129]
	v_fma_f64 v[140:141], v[88:89], s[2:3], v[104:105]
	;; [unrolled: 1-line block ×3, first 2 shown]
	v_add_f64_e32 v[134:135], v[174:175], v[22:23]
	v_fma_f64 v[66:67], v[82:83], s[20:21], -v[114:115]
	v_add_f64_e32 v[28:29], v[106:107], v[28:29]
	v_fma_f64 v[179:180], v[88:89], s[34:35], v[207:208]
	v_add_f64_e32 v[64:65], v[154:155], v[64:65]
	v_add_f64_e32 v[154:155], v[12:13], v[8:9]
	s_clause 0x1
	scratch_load_b64 v[8:9], off, off offset:24 th:TH_LOAD_LU
	scratch_load_b64 v[185:186], off, off
	v_fma_f64 v[138:139], v[82:83], s[2:3], -v[112:113]
	v_add_f64_e32 v[38:39], v[136:137], v[38:39]
	v_fma_f64 v[124:125], v[82:83], s[6:7], -v[160:161]
	v_fma_f64 v[136:137], v[88:89], s[6:7], v[164:165]
	v_fma_f64 v[126:127], v[82:83], s[34:35], v[215:216]
	v_fma_f64 v[142:143], v[88:89], s[34:35], -v[207:208]
	v_add_f64_e32 v[75:76], v[193:194], v[75:76]
	v_add_f64_e32 v[77:78], v[219:220], v[77:78]
	v_add_f64_e32 v[148:149], v[221:222], v[148:149]
	v_fma_f64 v[122:123], v[82:83], s[20:21], v[114:115]
	v_add_f64_e32 v[60:61], v[162:163], v[60:61]
	v_fma_f64 v[114:115], v[88:89], s[18:19], -v[168:169]
	v_add_f64_e32 v[106:107], v[108:109], v[46:47]
	v_add_f64_e32 v[158:159], v[16:17], v[18:19]
	v_fma_f64 v[108:109], v[88:89], s[10:11], -v[128:129]
	v_add_f64_e32 v[36:37], v[36:37], v[62:63]
	v_add_f64_e32 v[62:63], v[156:157], v[68:69]
	v_fma_f64 v[68:69], v[82:83], s[10:11], v[118:119]
	v_add_f64_e32 v[110:111], v[110:111], v[130:131]
	v_fma_f64 v[118:119], v[82:83], s[6:7], v[160:161]
	v_add_f64_e32 v[128:129], v[20:21], v[50:51]
	v_fma_f64 v[130:131], v[88:89], s[6:7], -v[164:165]
	v_add_f64_e32 v[100:101], v[132:133], v[100:101]
	v_fma_f64 v[81:82], v[82:83], s[2:3], v[112:113]
	v_add_f64_e32 v[83:84], v[84:85], v[24:25]
	v_fma_f64 v[88:89], v[88:89], s[2:3], -v[104:105]
	v_add_f64_e32 v[90:91], v[90:91], v[26:27]
	v_add_f64_e32 v[6:7], v[152:153], v[6:7]
	;; [unrolled: 1-line block ×23, first 2 shown]
	v_mad_u32_u24 v68, 0x110, v72, 0
	v_add_f64_e32 v[60:61], v[130:131], v[100:101]
	v_add_f64_e32 v[66:67], v[81:82], v[83:84]
	;; [unrolled: 1-line block ×3, first 2 shown]
	s_wait_loadcnt 0x1
	v_add_f64_e32 v[10:11], v[8:9], v[44:45]
	v_add_f64_e32 v[44:45], v[140:141], v[158:159]
	;; [unrolled: 1-line block ×7, first 2 shown]
	ds_store_b128 v68, v[4:7]
	ds_store_b128 v68, v[44:47] offset:16
	ds_store_b128 v68, v[40:43] offset:32
	;; [unrolled: 1-line block ×16, first 2 shown]
.LBB0_21:
	s_or_b32 exec_lo, exec_lo, s33
	v_and_b32_e32 v4, 0xff, v72
	global_wb scope:SCOPE_SE
	s_wait_storecnt 0x0
	s_wait_loadcnt_dscnt 0x0
	s_barrier_signal -1
	s_barrier_wait -1
	global_inv scope:SCOPE_SE
	v_mul_lo_u16 v4, 0xf1, v4
	s_mov_b32 s2, 0x8c811c17
	s_mov_b32 s10, 0xa2cf5039
	;; [unrolled: 1-line block ×4, first 2 shown]
	v_lshrrev_b16 v89, 12, v4
	s_mov_b32 s3, 0x3fef838b
	s_mov_b32 s11, 0x3fe8836f
	;; [unrolled: 1-line block ×4, first 2 shown]
	v_mul_lo_u16 v4, v89, 17
	s_delay_alu instid0(VALU_DEP_1) | instskip(NEXT) | instid1(VALU_DEP_1)
	v_sub_nc_u16 v4, v72, v4
	v_and_b32_e32 v90, 0xff, v4
	s_delay_alu instid0(VALU_DEP_1)
	v_lshlrev_b32_e32 v32, 7, v90
	s_clause 0x7
	global_load_b128 v[4:7], v32, s[4:5]
	global_load_b128 v[8:11], v32, s[4:5] offset:112
	global_load_b128 v[12:15], v32, s[4:5] offset:16
	global_load_b128 v[16:19], v32, s[4:5] offset:48
	global_load_b128 v[20:23], v32, s[4:5] offset:64
	global_load_b128 v[24:27], v32, s[4:5] offset:96
	global_load_b128 v[28:31], v32, s[4:5] offset:32
	global_load_b128 v[32:35], v32, s[4:5] offset:80
	ds_load_b128 v[36:39], v176 offset:1632
	ds_load_b128 v[40:43], v176 offset:13056
	;; [unrolled: 1-line block ×7, first 2 shown]
	s_wait_loadcnt_dscnt 0x706
	v_mul_f64_e32 v[64:65], v[38:39], v[6:7]
	v_mul_f64_e32 v[6:7], v[36:37], v[6:7]
	s_wait_loadcnt_dscnt 0x605
	v_mul_f64_e32 v[66:67], v[42:43], v[10:11]
	v_mul_f64_e32 v[10:11], v[40:41], v[10:11]
	;; [unrolled: 3-line block ×3, first 2 shown]
	s_wait_loadcnt_dscnt 0x403
	v_mul_f64_e32 v[70:71], v[50:51], v[18:19]
	s_wait_loadcnt_dscnt 0x302
	v_mul_f64_e32 v[73:74], v[54:55], v[22:23]
	v_mul_f64_e32 v[18:19], v[48:49], v[18:19]
	;; [unrolled: 1-line block ×3, first 2 shown]
	s_wait_loadcnt_dscnt 0x201
	v_mul_f64_e32 v[75:76], v[58:59], v[26:27]
	v_mul_f64_e32 v[26:27], v[56:57], v[26:27]
	v_fma_f64 v[36:37], v[36:37], v[4:5], v[64:65]
	v_fma_f64 v[38:39], v[38:39], v[4:5], -v[6:7]
	v_fma_f64 v[40:41], v[40:41], v[8:9], v[66:67]
	v_fma_f64 v[8:9], v[42:43], v[8:9], -v[10:11]
	;; [unrolled: 2-line block ×3, first 2 shown]
	v_fma_f64 v[14:15], v[48:49], v[16:17], v[70:71]
	v_fma_f64 v[44:45], v[52:53], v[20:21], v[73:74]
	v_fma_f64 v[16:17], v[50:51], v[16:17], -v[18:19]
	v_fma_f64 v[18:19], v[54:55], v[20:21], -v[22:23]
	v_fma_f64 v[20:21], v[56:57], v[24:25], v[75:76]
	v_fma_f64 v[22:23], v[58:59], v[24:25], -v[26:27]
	ds_load_b128 v[4:7], v176 offset:9792
	s_wait_loadcnt_dscnt 0x101
	v_mul_f64_e32 v[24:25], v[62:63], v[30:31]
	v_mul_f64_e32 v[26:27], v[60:61], v[30:31]
	v_add_f64_e64 v[46:47], v[36:37], -v[40:41]
	v_add_f64_e64 v[48:49], v[38:39], -v[8:9]
	v_add_f64_e32 v[38:39], v[38:39], v[8:9]
	ds_load_b128 v[8:11], v176
	s_wait_loadcnt_dscnt 0x1
	v_mul_f64_e32 v[30:31], v[6:7], v[34:35]
	v_mul_f64_e32 v[34:35], v[4:5], v[34:35]
	v_add_f64_e32 v[36:37], v[36:37], v[40:41]
	v_add_f64_e32 v[40:41], v[14:15], v[44:45]
	v_add_f64_e64 v[50:51], v[14:15], -v[44:45]
	v_add_f64_e64 v[52:53], v[16:17], -v[18:19]
	v_add_f64_e32 v[54:55], v[42:43], v[20:21]
	v_add_f64_e32 v[56:57], v[12:13], v[22:23]
	;; [unrolled: 1-line block ×3, first 2 shown]
	v_fma_f64 v[24:25], v[60:61], v[28:29], v[24:25]
	v_fma_f64 v[26:27], v[62:63], v[28:29], -v[26:27]
	v_add_f64_e64 v[20:21], v[42:43], -v[20:21]
	v_add_f64_e64 v[12:13], v[12:13], -v[22:23]
	global_wb scope:SCOPE_SE
	s_wait_dscnt 0x0
	s_barrier_signal -1
	s_barrier_wait -1
	global_inv scope:SCOPE_SE
	s_wait_alu 0xfffe
	v_mul_f64_e32 v[22:23], s[6:7], v[46:47]
	v_mul_f64_e32 v[28:29], s[6:7], v[48:49]
	s_mov_b32 s7, 0xbfe491b7
	v_fma_f64 v[4:5], v[4:5], v[32:33], v[30:31]
	v_fma_f64 v[6:7], v[6:7], v[32:33], -v[34:35]
	v_fma_f64 v[30:31], v[36:37], s[10:11], v[8:9]
	v_fma_f64 v[32:33], v[38:39], s[10:11], v[10:11]
	;; [unrolled: 1-line block ×3, first 2 shown]
	v_mul_f64_e32 v[42:43], s[2:3], v[50:51]
	v_mul_f64_e32 v[60:61], s[2:3], v[52:53]
	v_fma_f64 v[62:63], v[54:55], s[10:11], v[8:9]
	v_fma_f64 v[64:65], v[56:57], s[10:11], v[10:11]
	v_fma_f64 v[66:67], v[58:59], s[10:11], v[10:11]
	s_wait_alu 0xfffe
	v_mul_f64_e32 v[68:69], s[6:7], v[52:53]
	v_mul_f64_e32 v[70:71], s[6:7], v[50:51]
	v_add_f64_e32 v[77:78], v[54:55], v[36:37]
	v_add_f64_e32 v[79:80], v[56:57], v[38:39]
	s_mov_b32 s10, 0x7e0b738b
	s_mov_b32 s11, 0x3fc63a1a
	v_fma_f64 v[22:23], v[20:21], s[2:3], v[22:23]
	v_add_f64_e32 v[73:74], v[24:25], v[4:5]
	v_add_f64_e32 v[75:76], v[26:27], v[6:7]
	v_add_f64_e64 v[4:5], v[24:25], -v[4:5]
	v_add_f64_e64 v[6:7], v[26:27], -v[6:7]
	v_fma_f64 v[24:25], v[12:13], s[2:3], v[28:29]
	s_wait_alu 0xfffe
	v_fma_f64 v[26:27], v[54:55], s[10:11], v[30:31]
	v_fma_f64 v[28:29], v[56:57], s[10:11], v[32:33]
	;; [unrolled: 1-line block ×3, first 2 shown]
	v_fma_f64 v[32:33], v[20:21], s[6:7], -v[42:43]
	v_fma_f64 v[34:35], v[12:13], s[6:7], -v[60:61]
	v_fma_f64 v[42:43], v[40:41], s[10:11], v[62:63]
	v_fma_f64 v[60:61], v[58:59], s[10:11], v[64:65]
	;; [unrolled: 1-line block ×5, first 2 shown]
	v_add_f64_e32 v[85:86], v[40:41], v[77:78]
	v_add_f64_e32 v[87:88], v[58:59], v[79:80]
	s_mov_b32 s2, 0xe8584cab
	s_mov_b32 s3, 0x3febb67a
	;; [unrolled: 1-line block ×3, first 2 shown]
	s_wait_alu 0xfffe
	s_mov_b32 s6, s2
	v_add_f64_e32 v[68:69], v[50:51], v[46:47]
	v_add_f64_e32 v[70:71], v[52:53], v[48:49]
	s_mov_b32 s10, 0x748a0bf8
	s_mov_b32 s11, 0x3fd5e3a8
	v_add_f64_e32 v[77:78], v[73:74], v[77:78]
	v_add_f64_e32 v[79:80], v[75:76], v[79:80]
	v_fma_f64 v[22:23], v[4:5], s[2:3], v[22:23]
	v_add_f64_e32 v[81:82], v[8:9], v[73:74]
	v_fma_f64 v[24:25], v[6:7], s[2:3], v[24:25]
	v_fma_f64 v[26:27], v[73:74], -0.5, v[26:27]
	v_fma_f64 v[28:29], v[75:76], -0.5, v[28:29]
	;; [unrolled: 1-line block ×3, first 2 shown]
	v_fma_f64 v[32:33], v[4:5], s[2:3], v[32:33]
	v_fma_f64 v[34:35], v[6:7], s[2:3], v[34:35]
	v_fma_f64 v[42:43], v[73:74], -0.5, v[42:43]
	v_fma_f64 v[60:61], v[75:76], -0.5, v[60:61]
	v_add_f64_e32 v[83:84], v[10:11], v[75:76]
	v_fma_f64 v[62:63], v[75:76], -0.5, v[62:63]
	s_wait_alu 0xfffe
	v_fma_f64 v[6:7], v[6:7], s[6:7], v[64:65]
	v_fma_f64 v[4:5], v[4:5], s[6:7], v[66:67]
	v_add_f64_e64 v[64:65], v[68:69], -v[20:21]
	v_add_f64_e64 v[66:67], v[70:71], -v[12:13]
	v_add_f64_e32 v[14:15], v[14:15], v[77:78]
	v_add_f64_e32 v[16:17], v[16:17], v[79:80]
	v_fma_f64 v[50:51], v[50:51], s[10:11], v[22:23]
	v_fma_f64 v[68:69], v[85:86], -0.5, v[81:82]
	v_fma_f64 v[52:53], v[52:53], s[10:11], v[24:25]
	v_fma_f64 v[22:23], v[40:41], s[12:13], v[26:27]
	;; [unrolled: 1-line block ×8, first 2 shown]
	v_fma_f64 v[70:71], v[87:88], -0.5, v[83:84]
	v_fma_f64 v[34:35], v[56:57], s[12:13], v[62:63]
	v_fma_f64 v[36:37], v[12:13], s[10:11], v[6:7]
	;; [unrolled: 1-line block ×3, first 2 shown]
	v_mul_f64_e32 v[4:5], s[2:3], v[64:65]
	v_mul_f64_e32 v[6:7], s[2:3], v[66:67]
	v_add_f64_e32 v[42:43], v[44:45], v[14:15]
	v_add_f64_e32 v[44:45], v[18:19], v[16:17]
	v_fma_f64 v[12:13], v[66:67], s[6:7], v[68:69]
	v_add_f64_e64 v[16:17], v[22:23], -v[52:53]
	v_add_f64_e32 v[18:19], v[50:51], v[24:25]
	v_add_f64_e64 v[20:21], v[28:29], -v[32:33]
	v_add_f64_e32 v[22:23], v[40:41], v[30:31]
	v_fma_f64 v[14:15], v[64:65], s[2:3], v[70:71]
	v_add_f64_e64 v[24:25], v[26:27], -v[36:37]
	v_add_f64_e32 v[26:27], v[38:39], v[34:35]
	v_add_f64_e32 v[8:9], v[8:9], v[42:43]
	;; [unrolled: 1-line block ×3, first 2 shown]
	v_fma_f64 v[28:29], v[6:7], 2.0, v[12:13]
	v_fma_f64 v[6:7], v[50:51], -2.0, v[18:19]
	v_fma_f64 v[32:33], v[32:33], 2.0, v[20:21]
	v_fma_f64 v[34:35], v[40:41], -2.0, v[22:23]
	v_fma_f64 v[30:31], v[4:5], -2.0, v[14:15]
	v_fma_f64 v[4:5], v[52:53], 2.0, v[16:17]
	v_fma_f64 v[36:37], v[36:37], 2.0, v[24:25]
	v_fma_f64 v[38:39], v[38:39], -2.0, v[26:27]
	v_and_b32_e32 v40, 0xffff, v89
	v_lshlrev_b32_e32 v41, 4, v90
	s_delay_alu instid0(VALU_DEP_2) | instskip(NEXT) | instid1(VALU_DEP_1)
	v_mul_u32_u24_e32 v40, 0x990, v40
	v_add3_u32 v40, 0, v40, v41
	ds_store_b128 v40, v[8:11]
	ds_store_b128 v40, v[16:19] offset:272
	ds_store_b128 v40, v[24:27] offset:544
	;; [unrolled: 1-line block ×8, first 2 shown]
	global_wb scope:SCOPE_SE
	s_wait_dscnt 0x0
	s_barrier_signal -1
	s_barrier_wait -1
	global_inv scope:SCOPE_SE
	ds_load_b128 v[12:15], v176
	ds_load_b128 v[16:19], v176 offset:1632
	ds_load_b128 v[28:31], v176 offset:7344
	;; [unrolled: 1-line block ×7, first 2 shown]
	s_and_saveexec_b32 s1, s0
	s_cbranch_execz .LBB0_23
; %bb.22:
	ds_load_b128 v[4:7], v176 offset:6528
	ds_load_b128 v[0:3], v176 offset:13872
.LBB0_23:
	s_wait_alu 0xfffe
	s_or_b32 exec_lo, exec_lo, s1
	v_add_nc_u32_e32 v47, 0x132, v72
	v_add_nc_u32_e32 v42, 0x66, v72
	v_subrev_nc_u32_e32 v43, 51, v72
	s_delay_alu instid0(VALU_DEP_3) | instskip(NEXT) | instid1(VALU_DEP_1)
	v_dual_mov_b32 v41, 0 :: v_dual_and_b32 v40, 0xffff, v47
	v_mul_u32_u24_e32 v44, 0x358b, v40
	s_delay_alu instid0(VALU_DEP_3) | instskip(NEXT) | instid1(VALU_DEP_2)
	v_cndmask_b32_e64 v40, v43, v42, s0
	v_lshrrev_b32_e32 v45, 21, v44
	s_delay_alu instid0(VALU_DEP_2) | instskip(SKIP_1) | instid1(VALU_DEP_3)
	v_lshlrev_b64_e32 v[43:44], 4, v[40:41]
	v_lshlrev_b32_e32 v40, 4, v40
	v_mul_lo_u16 v48, 0x99, v45
	v_add_co_u32 v45, s1, s4, v187
	s_wait_alu 0xf1ff
	v_add_co_ci_u32_e64 v46, s1, s5, v188, s1
	s_delay_alu instid0(VALU_DEP_3) | instskip(SKIP_3) | instid1(VALU_DEP_3)
	v_sub_nc_u16 v49, v47, v48
	v_add_co_u32 v47, s1, s4, v43
	s_wait_alu 0xf1ff
	v_add_co_ci_u32_e64 v48, s1, s5, v44, s1
	v_and_b32_e32 v49, 0xffff, v49
	v_add_co_u32 v51, s1, s4, v189
	s_wait_alu 0xf1ff
	v_add_co_ci_u32_e64 v52, s1, s5, v190, s1
	global_load_b128 v[43:46], v[45:46], off offset:2176
	v_lshlrev_b32_e32 v67, 4, v49
	v_cmp_lt_u32_e64 s1, 50, v72
	s_clause 0x2
	global_load_b128 v[47:50], v[47:48], off offset:2176
	global_load_b128 v[51:54], v[51:52], off offset:2992
	global_load_b128 v[55:58], v67, s[4:5] offset:2176
	global_wb scope:SCOPE_SE
	s_wait_loadcnt_dscnt 0x0
	s_barrier_signal -1
	s_barrier_wait -1
	global_inv scope:SCOPE_SE
	v_mul_f64_e32 v[59:60], v[30:31], v[45:46]
	v_mul_f64_e32 v[45:46], v[28:29], v[45:46]
	v_mul_f64_e32 v[61:62], v[26:27], v[49:50]
	v_mul_f64_e32 v[49:50], v[24:25], v[49:50]
	v_mul_f64_e32 v[63:64], v[38:39], v[53:54]
	v_mul_f64_e32 v[53:54], v[36:37], v[53:54]
	v_mul_f64_e32 v[65:66], v[34:35], v[57:58]
	v_mul_f64_e32 v[57:58], v[32:33], v[57:58]
	v_fma_f64 v[28:29], v[28:29], v[43:44], v[59:60]
	v_fma_f64 v[30:31], v[30:31], v[43:44], -v[45:46]
	v_fma_f64 v[43:44], v[24:25], v[47:48], v[61:62]
	v_fma_f64 v[45:46], v[26:27], v[47:48], -v[49:50]
	v_fma_f64 v[36:37], v[36:37], v[51:52], v[63:64]
	v_fma_f64 v[38:39], v[38:39], v[51:52], -v[53:54]
	v_fma_f64 v[47:48], v[32:33], v[55:56], v[65:66]
	v_fma_f64 v[49:50], v[34:35], v[55:56], -v[57:58]
	v_add_f64_e64 v[24:25], v[12:13], -v[28:29]
	v_add_f64_e64 v[26:27], v[14:15], -v[30:31]
	;; [unrolled: 1-line block ×8, first 2 shown]
	s_wait_alu 0xf1ff
	v_cndmask_b32_e64 v43, 0, 0x1320, s1
	s_delay_alu instid0(VALU_DEP_1)
	v_add3_u32 v40, 0, v43, v40
	v_add_nc_u32_e32 v43, 0, v67
	v_fma_f64 v[12:13], v[12:13], 2.0, -v[24:25]
	v_fma_f64 v[14:15], v[14:15], 2.0, -v[26:27]
	;; [unrolled: 1-line block ×8, first 2 shown]
	ds_store_b128 v176, v[12:15]
	ds_store_b128 v176, v[24:27] offset:2448
	ds_store_b128 v40, v[16:19]
	ds_store_b128 v40, v[28:31] offset:2448
	ds_store_b128 v176, v[20:23] offset:5712
	;; [unrolled: 1-line block ×5, first 2 shown]
	s_and_saveexec_b32 s1, s0
	s_cbranch_execz .LBB0_25
; %bb.24:
	v_add_nc_u32_e32 v8, 0x198, v72
	s_delay_alu instid0(VALU_DEP_1) | instskip(NEXT) | instid1(VALU_DEP_1)
	v_and_b32_e32 v9, 0xffff, v8
	v_mul_u32_u24_e32 v9, 0x358b, v9
	s_delay_alu instid0(VALU_DEP_1) | instskip(NEXT) | instid1(VALU_DEP_1)
	v_lshrrev_b32_e32 v9, 21, v9
	v_mul_lo_u16 v9, 0x99, v9
	s_delay_alu instid0(VALU_DEP_1) | instskip(NEXT) | instid1(VALU_DEP_1)
	v_sub_nc_u16 v8, v8, v9
	v_and_b32_e32 v8, 0xffff, v8
	s_delay_alu instid0(VALU_DEP_1) | instskip(SKIP_4) | instid1(VALU_DEP_2)
	v_lshlrev_b32_e32 v14, 4, v8
	global_load_b128 v[8:11], v14, s[4:5] offset:2176
	s_wait_loadcnt 0x0
	v_mul_f64_e32 v[12:13], v[0:1], v[10:11]
	v_mul_f64_e32 v[10:11], v[2:3], v[10:11]
	v_fma_f64 v[2:3], v[2:3], v[8:9], -v[12:13]
	s_delay_alu instid0(VALU_DEP_2) | instskip(SKIP_1) | instid1(VALU_DEP_3)
	v_fma_f64 v[0:1], v[0:1], v[8:9], v[10:11]
	v_add_nc_u32_e32 v8, 0, v14
	v_add_f64_e64 v[2:3], v[6:7], -v[2:3]
	s_delay_alu instid0(VALU_DEP_3) | instskip(NEXT) | instid1(VALU_DEP_2)
	v_add_f64_e64 v[0:1], v[4:5], -v[0:1]
	v_fma_f64 v[6:7], v[6:7], 2.0, -v[2:3]
	s_delay_alu instid0(VALU_DEP_2)
	v_fma_f64 v[4:5], v[4:5], 2.0, -v[0:1]
	ds_store_b128 v8, v[4:7] offset:9792
	ds_store_b128 v8, v[0:3] offset:12240
.LBB0_25:
	s_wait_alu 0xfffe
	s_or_b32 exec_lo, exec_lo, s1
	v_dual_mov_b32 v3, v41 :: v_dual_lshlrev_b32 v40, 1, v72
	v_lshlrev_b32_e32 v2, 1, v42
	global_wb scope:SCOPE_SE
	s_wait_dscnt 0x0
	s_barrier_signal -1
	v_lshlrev_b64_e32 v[0:1], 4, v[40:41]
	v_add_nc_u32_e32 v40, 0x198, v40
	v_lshlrev_b64_e32 v[8:9], 4, v[2:3]
	s_barrier_wait -1
	global_inv scope:SCOPE_SE
	s_mov_b32 s3, 0x3febb67a
	v_add_co_u32 v4, s0, s4, v0
	v_lshlrev_b64_e32 v[10:11], 4, v[40:41]
	s_wait_alu 0xf1ff
	v_add_co_ci_u32_e64 v5, s0, s5, v1, s0
	v_add_co_u32 v12, s0, s4, v8
	s_wait_alu 0xf1ff
	v_add_co_ci_u32_e64 v13, s0, s5, v9, s0
	v_add_co_u32 v20, s0, s4, v10
	s_clause 0x1
	global_load_b128 v[0:3], v[4:5], off offset:4640
	global_load_b128 v[4:7], v[4:5], off offset:4624
	s_wait_alu 0xf1ff
	v_add_co_ci_u32_e64 v21, s0, s5, v11, s0
	s_clause 0x3
	global_load_b128 v[8:11], v[12:13], off offset:4624
	global_load_b128 v[12:15], v[12:13], off offset:4640
	;; [unrolled: 1-line block ×4, first 2 shown]
	ds_load_b128 v[24:27], v176 offset:4896
	ds_load_b128 v[28:31], v176 offset:9792
	;; [unrolled: 1-line block ×7, first 2 shown]
	s_mov_b32 s0, 0xe8584caa
	s_mov_b32 s1, 0xbfebb67a
	s_wait_alu 0xfffe
	s_mov_b32 s2, s0
	s_wait_loadcnt_dscnt 0x505
	v_mul_f64_e32 v[54:55], v[30:31], v[2:3]
	s_wait_loadcnt 0x4
	v_mul_f64_e32 v[52:53], v[26:27], v[6:7]
	v_mul_f64_e32 v[6:7], v[24:25], v[6:7]
	;; [unrolled: 1-line block ×3, first 2 shown]
	s_wait_loadcnt_dscnt 0x304
	v_mul_f64_e32 v[56:57], v[34:35], v[10:11]
	s_wait_loadcnt_dscnt 0x203
	v_mul_f64_e32 v[58:59], v[38:39], v[14:15]
	v_mul_f64_e32 v[10:11], v[32:33], v[10:11]
	;; [unrolled: 1-line block ×3, first 2 shown]
	s_wait_loadcnt_dscnt 0x102
	v_mul_f64_e32 v[60:61], v[42:43], v[18:19]
	s_wait_loadcnt_dscnt 0x1
	v_mul_f64_e32 v[62:63], v[46:47], v[22:23]
	v_mul_f64_e32 v[18:19], v[40:41], v[18:19]
	;; [unrolled: 1-line block ×3, first 2 shown]
	v_fma_f64 v[28:29], v[28:29], v[0:1], v[54:55]
	v_fma_f64 v[24:25], v[24:25], v[4:5], v[52:53]
	v_fma_f64 v[26:27], v[26:27], v[4:5], -v[6:7]
	v_fma_f64 v[30:31], v[30:31], v[0:1], -v[2:3]
	v_fma_f64 v[32:33], v[32:33], v[8:9], v[56:57]
	v_fma_f64 v[36:37], v[36:37], v[12:13], v[58:59]
	v_fma_f64 v[8:9], v[34:35], v[8:9], -v[10:11]
	v_fma_f64 v[10:11], v[38:39], v[12:13], -v[14:15]
	;; [unrolled: 4-line block ×3, first 2 shown]
	ds_load_b128 v[0:3], v176
	ds_load_b128 v[4:7], v176 offset:1632
	global_wb scope:SCOPE_SE
	s_wait_dscnt 0x0
	s_barrier_signal -1
	s_barrier_wait -1
	global_inv scope:SCOPE_SE
	v_add_f64_e32 v[20:21], v[24:25], v[28:29]
	v_add_f64_e32 v[44:45], v[0:1], v[24:25]
	v_add_f64_e32 v[22:23], v[26:27], v[30:31]
	v_add_f64_e64 v[46:47], v[26:27], -v[30:31]
	v_add_f64_e32 v[34:35], v[32:33], v[36:37]
	v_add_f64_e32 v[26:27], v[2:3], v[26:27]
	;; [unrolled: 1-line block ×8, first 2 shown]
	v_add_f64_e64 v[24:25], v[24:25], -v[28:29]
	v_add_f64_e32 v[56:57], v[48:49], v[12:13]
	v_add_f64_e64 v[60:61], v[8:9], -v[10:11]
	v_add_f64_e64 v[32:33], v[32:33], -v[36:37]
	;; [unrolled: 1-line block ×3, first 2 shown]
	v_fma_f64 v[20:21], v[20:21], -0.5, v[0:1]
	v_add_f64_e32 v[0:1], v[44:45], v[28:29]
	v_fma_f64 v[22:23], v[22:23], -0.5, v[2:3]
	v_fma_f64 v[34:35], v[34:35], -0.5, v[4:5]
	v_add_f64_e32 v[2:3], v[26:27], v[30:31]
	v_fma_f64 v[38:39], v[38:39], -0.5, v[6:7]
	v_add_f64_e32 v[4:5], v[52:53], v[36:37]
	v_fma_f64 v[40:41], v[40:41], -0.5, v[48:49]
	v_add_f64_e64 v[48:49], v[12:13], -v[14:15]
	v_fma_f64 v[42:43], v[42:43], -0.5, v[50:51]
	v_add_f64_e32 v[6:7], v[54:55], v[10:11]
	v_add_f64_e32 v[10:11], v[58:59], v[18:19]
	;; [unrolled: 1-line block ×3, first 2 shown]
	s_wait_alu 0xfffe
	v_fma_f64 v[16:17], v[46:47], s[2:3], v[20:21]
	v_fma_f64 v[12:13], v[46:47], s[0:1], v[20:21]
	;; [unrolled: 1-line block ×12, first 2 shown]
	ds_store_b128 v176, v[0:3]
	ds_store_b128 v176, v[4:7] offset:1632
	ds_store_b128 v176, v[16:19] offset:9792
	;; [unrolled: 1-line block ×8, first 2 shown]
	global_wb scope:SCOPE_SE
	s_wait_dscnt 0x0
	s_barrier_signal -1
	s_barrier_wait -1
	global_inv scope:SCOPE_SE
	s_and_saveexec_b32 s0, vcc_lo
	s_cbranch_execz .LBB0_27
; %bb.26:
	v_dual_mov_b32 v73, 0 :: v_dual_add_nc_u32 v8, 0x66, v72
	v_add_co_u32 v30, vcc_lo, s8, v185
	v_lshl_add_u32 v28, v72, 4, 0
	s_delay_alu instid0(VALU_DEP_3) | instskip(SKIP_4) | instid1(VALU_DEP_4)
	v_lshlrev_b64_e32 v[0:1], 4, v[72:73]
	s_wait_alu 0xfffd
	v_add_co_ci_u32_e32 v31, vcc_lo, s9, v186, vcc_lo
	v_dual_mov_b32 v9, v73 :: v_dual_add_nc_u32 v10, 0xcc, v72
	v_dual_mov_b32 v11, v73 :: v_dual_add_nc_u32 v22, 0x132, v72
	v_add_co_u32 v16, vcc_lo, v30, v0
	s_wait_alu 0xfffd
	v_add_co_ci_u32_e32 v17, vcc_lo, v31, v1, vcc_lo
	ds_load_b128 v[0:3], v28
	ds_load_b128 v[4:7], v28 offset:1632
	v_lshlrev_b64_e32 v[18:19], 4, v[8:9]
	v_lshlrev_b64_e32 v[20:21], 4, v[10:11]
	ds_load_b128 v[8:11], v28 offset:3264
	ds_load_b128 v[12:15], v28 offset:4896
	v_dual_mov_b32 v23, v73 :: v_dual_add_nc_u32 v24, 0x198, v72
	v_mov_b32_e32 v25, v73
	v_add_co_u32 v18, vcc_lo, v30, v18
	s_delay_alu instid0(VALU_DEP_3)
	v_lshlrev_b64_e32 v[22:23], 4, v[22:23]
	s_wait_alu 0xfffd
	v_add_co_ci_u32_e32 v19, vcc_lo, v31, v19, vcc_lo
	v_add_co_u32 v20, vcc_lo, v30, v20
	s_wait_alu 0xfffd
	v_add_co_ci_u32_e32 v21, vcc_lo, v31, v21, vcc_lo
	v_add_co_u32 v22, vcc_lo, v30, v22
	s_wait_dscnt 0x3
	global_store_b128 v[16:17], v[0:3], off
	s_wait_dscnt 0x2
	global_store_b128 v[18:19], v[4:7], off
	v_dual_mov_b32 v3, v73 :: v_dual_add_nc_u32 v2, 0x1fe, v72
	s_wait_alu 0xfffd
	v_add_co_ci_u32_e32 v23, vcc_lo, v31, v23, vcc_lo
	v_lshlrev_b64_e32 v[0:1], 4, v[24:25]
	s_wait_dscnt 0x1
	global_store_b128 v[20:21], v[8:11], off
	s_wait_dscnt 0x0
	global_store_b128 v[22:23], v[12:15], off
	v_add_nc_u32_e32 v10, 0x264, v72
	v_lshlrev_b64_e32 v[8:9], 4, v[2:3]
	v_dual_mov_b32 v11, v73 :: v_dual_add_nc_u32 v24, 0x2ca, v72
	v_add_co_u32 v20, vcc_lo, v30, v0
	s_wait_alu 0xfffd
	v_add_co_ci_u32_e32 v21, vcc_lo, v31, v1, vcc_lo
	s_delay_alu instid0(VALU_DEP_4)
	v_add_co_u32 v22, vcc_lo, v30, v8
	ds_load_b128 v[0:3], v28 offset:6528
	ds_load_b128 v[4:7], v28 offset:8160
	s_wait_alu 0xfffd
	v_add_co_ci_u32_e32 v23, vcc_lo, v31, v9, vcc_lo
	v_lshlrev_b64_e32 v[26:27], 4, v[10:11]
	ds_load_b128 v[8:11], v28 offset:9792
	ds_load_b128 v[12:15], v28 offset:11424
	;; [unrolled: 1-line block ×3, first 2 shown]
	v_add_nc_u32_e32 v72, 0x330, v72
	v_lshlrev_b64_e32 v[24:25], 4, v[24:25]
	v_add_co_u32 v26, vcc_lo, v30, v26
	s_delay_alu instid0(VALU_DEP_3) | instskip(SKIP_2) | instid1(VALU_DEP_4)
	v_lshlrev_b64_e32 v[28:29], 4, v[72:73]
	s_wait_alu 0xfffd
	v_add_co_ci_u32_e32 v27, vcc_lo, v31, v27, vcc_lo
	v_add_co_u32 v24, vcc_lo, v30, v24
	s_wait_alu 0xfffd
	v_add_co_ci_u32_e32 v25, vcc_lo, v31, v25, vcc_lo
	v_add_co_u32 v28, vcc_lo, v30, v28
	s_wait_alu 0xfffd
	v_add_co_ci_u32_e32 v29, vcc_lo, v31, v29, vcc_lo
	s_wait_dscnt 0x4
	global_store_b128 v[20:21], v[0:3], off
	s_wait_dscnt 0x3
	global_store_b128 v[22:23], v[4:7], off
	;; [unrolled: 2-line block ×5, first 2 shown]
.LBB0_27:
	s_nop 0
	s_sendmsg sendmsg(MSG_DEALLOC_VGPRS)
	s_endpgm
	.section	.rodata,"a",@progbits
	.p2align	6, 0x0
	.amdhsa_kernel fft_rtc_back_len918_factors_17_9_2_3_wgs_102_tpt_102_halfLds_dp_ip_CI_unitstride_sbrr_C2R_dirReg
		.amdhsa_group_segment_fixed_size 0
		.amdhsa_private_segment_fixed_size 36
		.amdhsa_kernarg_size 88
		.amdhsa_user_sgpr_count 2
		.amdhsa_user_sgpr_dispatch_ptr 0
		.amdhsa_user_sgpr_queue_ptr 0
		.amdhsa_user_sgpr_kernarg_segment_ptr 1
		.amdhsa_user_sgpr_dispatch_id 0
		.amdhsa_user_sgpr_private_segment_size 0
		.amdhsa_wavefront_size32 1
		.amdhsa_uses_dynamic_stack 0
		.amdhsa_enable_private_segment 1
		.amdhsa_system_sgpr_workgroup_id_x 1
		.amdhsa_system_sgpr_workgroup_id_y 0
		.amdhsa_system_sgpr_workgroup_id_z 0
		.amdhsa_system_sgpr_workgroup_info 0
		.amdhsa_system_vgpr_workitem_id 0
		.amdhsa_next_free_vgpr 255
		.amdhsa_next_free_sgpr 54
		.amdhsa_reserve_vcc 1
		.amdhsa_float_round_mode_32 0
		.amdhsa_float_round_mode_16_64 0
		.amdhsa_float_denorm_mode_32 3
		.amdhsa_float_denorm_mode_16_64 3
		.amdhsa_fp16_overflow 0
		.amdhsa_workgroup_processor_mode 1
		.amdhsa_memory_ordered 1
		.amdhsa_forward_progress 0
		.amdhsa_round_robin_scheduling 0
		.amdhsa_exception_fp_ieee_invalid_op 0
		.amdhsa_exception_fp_denorm_src 0
		.amdhsa_exception_fp_ieee_div_zero 0
		.amdhsa_exception_fp_ieee_overflow 0
		.amdhsa_exception_fp_ieee_underflow 0
		.amdhsa_exception_fp_ieee_inexact 0
		.amdhsa_exception_int_div_zero 0
	.end_amdhsa_kernel
	.text
.Lfunc_end0:
	.size	fft_rtc_back_len918_factors_17_9_2_3_wgs_102_tpt_102_halfLds_dp_ip_CI_unitstride_sbrr_C2R_dirReg, .Lfunc_end0-fft_rtc_back_len918_factors_17_9_2_3_wgs_102_tpt_102_halfLds_dp_ip_CI_unitstride_sbrr_C2R_dirReg
                                        ; -- End function
	.section	.AMDGPU.csdata,"",@progbits
; Kernel info:
; codeLenInByte = 11360
; NumSgprs: 56
; NumVgprs: 255
; ScratchSize: 36
; MemoryBound: 0
; FloatMode: 240
; IeeeMode: 1
; LDSByteSize: 0 bytes/workgroup (compile time only)
; SGPRBlocks: 6
; VGPRBlocks: 31
; NumSGPRsForWavesPerEU: 56
; NumVGPRsForWavesPerEU: 255
; Occupancy: 5
; WaveLimiterHint : 1
; COMPUTE_PGM_RSRC2:SCRATCH_EN: 1
; COMPUTE_PGM_RSRC2:USER_SGPR: 2
; COMPUTE_PGM_RSRC2:TRAP_HANDLER: 0
; COMPUTE_PGM_RSRC2:TGID_X_EN: 1
; COMPUTE_PGM_RSRC2:TGID_Y_EN: 0
; COMPUTE_PGM_RSRC2:TGID_Z_EN: 0
; COMPUTE_PGM_RSRC2:TIDIG_COMP_CNT: 0
	.text
	.p2alignl 7, 3214868480
	.fill 96, 4, 3214868480
	.type	__hip_cuid_5de3a083346cb009,@object ; @__hip_cuid_5de3a083346cb009
	.section	.bss,"aw",@nobits
	.globl	__hip_cuid_5de3a083346cb009
__hip_cuid_5de3a083346cb009:
	.byte	0                               ; 0x0
	.size	__hip_cuid_5de3a083346cb009, 1

	.ident	"AMD clang version 19.0.0git (https://github.com/RadeonOpenCompute/llvm-project roc-6.4.0 25133 c7fe45cf4b819c5991fe208aaa96edf142730f1d)"
	.section	".note.GNU-stack","",@progbits
	.addrsig
	.addrsig_sym __hip_cuid_5de3a083346cb009
	.amdgpu_metadata
---
amdhsa.kernels:
  - .args:
      - .actual_access:  read_only
        .address_space:  global
        .offset:         0
        .size:           8
        .value_kind:     global_buffer
      - .offset:         8
        .size:           8
        .value_kind:     by_value
      - .actual_access:  read_only
        .address_space:  global
        .offset:         16
        .size:           8
        .value_kind:     global_buffer
      - .actual_access:  read_only
        .address_space:  global
        .offset:         24
        .size:           8
        .value_kind:     global_buffer
      - .offset:         32
        .size:           8
        .value_kind:     by_value
      - .actual_access:  read_only
        .address_space:  global
        .offset:         40
        .size:           8
        .value_kind:     global_buffer
      - .actual_access:  read_only
        .address_space:  global
        .offset:         48
        .size:           8
        .value_kind:     global_buffer
      - .offset:         56
        .size:           4
        .value_kind:     by_value
      - .actual_access:  read_only
        .address_space:  global
        .offset:         64
        .size:           8
        .value_kind:     global_buffer
      - .actual_access:  read_only
        .address_space:  global
        .offset:         72
        .size:           8
        .value_kind:     global_buffer
      - .address_space:  global
        .offset:         80
        .size:           8
        .value_kind:     global_buffer
    .group_segment_fixed_size: 0
    .kernarg_segment_align: 8
    .kernarg_segment_size: 88
    .language:       OpenCL C
    .language_version:
      - 2
      - 0
    .max_flat_workgroup_size: 102
    .name:           fft_rtc_back_len918_factors_17_9_2_3_wgs_102_tpt_102_halfLds_dp_ip_CI_unitstride_sbrr_C2R_dirReg
    .private_segment_fixed_size: 36
    .sgpr_count:     56
    .sgpr_spill_count: 0
    .symbol:         fft_rtc_back_len918_factors_17_9_2_3_wgs_102_tpt_102_halfLds_dp_ip_CI_unitstride_sbrr_C2R_dirReg.kd
    .uniform_work_group_size: 1
    .uses_dynamic_stack: false
    .vgpr_count:     255
    .vgpr_spill_count: 8
    .wavefront_size: 32
    .workgroup_processor_mode: 1
amdhsa.target:   amdgcn-amd-amdhsa--gfx1201
amdhsa.version:
  - 1
  - 2
...

	.end_amdgpu_metadata
